;; amdgpu-corpus repo=ROCm/rocFFT kind=compiled arch=gfx1030 opt=O3
	.text
	.amdgcn_target "amdgcn-amd-amdhsa--gfx1030"
	.amdhsa_code_object_version 6
	.protected	fft_rtc_fwd_len1890_factors_2_3_3_3_7_5_wgs_126_tpt_126_halfLds_dp_ip_CI_unitstride_sbrr_C2R_dirReg ; -- Begin function fft_rtc_fwd_len1890_factors_2_3_3_3_7_5_wgs_126_tpt_126_halfLds_dp_ip_CI_unitstride_sbrr_C2R_dirReg
	.globl	fft_rtc_fwd_len1890_factors_2_3_3_3_7_5_wgs_126_tpt_126_halfLds_dp_ip_CI_unitstride_sbrr_C2R_dirReg
	.p2align	8
	.type	fft_rtc_fwd_len1890_factors_2_3_3_3_7_5_wgs_126_tpt_126_halfLds_dp_ip_CI_unitstride_sbrr_C2R_dirReg,@function
fft_rtc_fwd_len1890_factors_2_3_3_3_7_5_wgs_126_tpt_126_halfLds_dp_ip_CI_unitstride_sbrr_C2R_dirReg: ; @fft_rtc_fwd_len1890_factors_2_3_3_3_7_5_wgs_126_tpt_126_halfLds_dp_ip_CI_unitstride_sbrr_C2R_dirReg
; %bb.0:
	s_clause 0x2
	s_load_dwordx4 s[8:11], s[4:5], 0x0
	s_load_dwordx2 s[2:3], s[4:5], 0x50
	s_load_dwordx2 s[12:13], s[4:5], 0x18
	v_mul_u32_u24_e32 v1, 0x209, v0
	v_mov_b32_e32 v3, 0
	v_add_nc_u32_sdwa v5, s6, v1 dst_sel:DWORD dst_unused:UNUSED_PAD src0_sel:DWORD src1_sel:WORD_1
	v_mov_b32_e32 v1, 0
	v_mov_b32_e32 v6, v3
	v_mov_b32_e32 v2, 0
	s_waitcnt lgkmcnt(0)
	v_cmp_lt_u64_e64 s0, s[10:11], 2
	s_and_b32 vcc_lo, exec_lo, s0
	s_cbranch_vccnz .LBB0_8
; %bb.1:
	s_load_dwordx2 s[0:1], s[4:5], 0x10
	v_mov_b32_e32 v1, 0
	s_add_u32 s6, s12, 8
	v_mov_b32_e32 v2, 0
	s_addc_u32 s7, s13, 0
	s_mov_b64 s[16:17], 1
	s_waitcnt lgkmcnt(0)
	s_add_u32 s14, s0, 8
	s_addc_u32 s15, s1, 0
.LBB0_2:                                ; =>This Inner Loop Header: Depth=1
	s_load_dwordx2 s[18:19], s[14:15], 0x0
                                        ; implicit-def: $vgpr7_vgpr8
	s_mov_b32 s0, exec_lo
	s_waitcnt lgkmcnt(0)
	v_or_b32_e32 v4, s19, v6
	v_cmpx_ne_u64_e32 0, v[3:4]
	s_xor_b32 s1, exec_lo, s0
	s_cbranch_execz .LBB0_4
; %bb.3:                                ;   in Loop: Header=BB0_2 Depth=1
	v_cvt_f32_u32_e32 v4, s18
	v_cvt_f32_u32_e32 v7, s19
	s_sub_u32 s0, 0, s18
	s_subb_u32 s20, 0, s19
	v_fmac_f32_e32 v4, 0x4f800000, v7
	v_rcp_f32_e32 v4, v4
	v_mul_f32_e32 v4, 0x5f7ffffc, v4
	v_mul_f32_e32 v7, 0x2f800000, v4
	v_trunc_f32_e32 v7, v7
	v_fmac_f32_e32 v4, 0xcf800000, v7
	v_cvt_u32_f32_e32 v7, v7
	v_cvt_u32_f32_e32 v4, v4
	v_mul_lo_u32 v8, s0, v7
	v_mul_hi_u32 v9, s0, v4
	v_mul_lo_u32 v10, s20, v4
	v_add_nc_u32_e32 v8, v9, v8
	v_mul_lo_u32 v9, s0, v4
	v_add_nc_u32_e32 v8, v8, v10
	v_mul_hi_u32 v10, v4, v9
	v_mul_lo_u32 v11, v4, v8
	v_mul_hi_u32 v12, v4, v8
	v_mul_hi_u32 v13, v7, v9
	v_mul_lo_u32 v9, v7, v9
	v_mul_hi_u32 v14, v7, v8
	v_mul_lo_u32 v8, v7, v8
	v_add_co_u32 v10, vcc_lo, v10, v11
	v_add_co_ci_u32_e32 v11, vcc_lo, 0, v12, vcc_lo
	v_add_co_u32 v9, vcc_lo, v10, v9
	v_add_co_ci_u32_e32 v9, vcc_lo, v11, v13, vcc_lo
	v_add_co_ci_u32_e32 v10, vcc_lo, 0, v14, vcc_lo
	v_add_co_u32 v8, vcc_lo, v9, v8
	v_add_co_ci_u32_e32 v9, vcc_lo, 0, v10, vcc_lo
	v_add_co_u32 v4, vcc_lo, v4, v8
	v_add_co_ci_u32_e32 v7, vcc_lo, v7, v9, vcc_lo
	v_mul_hi_u32 v8, s0, v4
	v_mul_lo_u32 v10, s20, v4
	v_mul_lo_u32 v9, s0, v7
	v_add_nc_u32_e32 v8, v8, v9
	v_mul_lo_u32 v9, s0, v4
	v_add_nc_u32_e32 v8, v8, v10
	v_mul_hi_u32 v10, v4, v9
	v_mul_lo_u32 v11, v4, v8
	v_mul_hi_u32 v12, v4, v8
	v_mul_hi_u32 v13, v7, v9
	v_mul_lo_u32 v9, v7, v9
	v_mul_hi_u32 v14, v7, v8
	v_mul_lo_u32 v8, v7, v8
	v_add_co_u32 v10, vcc_lo, v10, v11
	v_add_co_ci_u32_e32 v11, vcc_lo, 0, v12, vcc_lo
	v_add_co_u32 v9, vcc_lo, v10, v9
	v_add_co_ci_u32_e32 v9, vcc_lo, v11, v13, vcc_lo
	v_add_co_ci_u32_e32 v10, vcc_lo, 0, v14, vcc_lo
	v_add_co_u32 v8, vcc_lo, v9, v8
	v_add_co_ci_u32_e32 v9, vcc_lo, 0, v10, vcc_lo
	v_add_co_u32 v4, vcc_lo, v4, v8
	v_add_co_ci_u32_e32 v11, vcc_lo, v7, v9, vcc_lo
	v_mul_hi_u32 v13, v5, v4
	v_mad_u64_u32 v[9:10], null, v6, v4, 0
	v_mad_u64_u32 v[7:8], null, v5, v11, 0
	;; [unrolled: 1-line block ×3, first 2 shown]
	v_add_co_u32 v4, vcc_lo, v13, v7
	v_add_co_ci_u32_e32 v7, vcc_lo, 0, v8, vcc_lo
	v_add_co_u32 v4, vcc_lo, v4, v9
	v_add_co_ci_u32_e32 v4, vcc_lo, v7, v10, vcc_lo
	v_add_co_ci_u32_e32 v7, vcc_lo, 0, v12, vcc_lo
	v_add_co_u32 v4, vcc_lo, v4, v11
	v_add_co_ci_u32_e32 v9, vcc_lo, 0, v7, vcc_lo
	v_mul_lo_u32 v10, s19, v4
	v_mad_u64_u32 v[7:8], null, s18, v4, 0
	v_mul_lo_u32 v11, s18, v9
	v_sub_co_u32 v7, vcc_lo, v5, v7
	v_add3_u32 v8, v8, v11, v10
	v_sub_nc_u32_e32 v10, v6, v8
	v_subrev_co_ci_u32_e64 v10, s0, s19, v10, vcc_lo
	v_add_co_u32 v11, s0, v4, 2
	v_add_co_ci_u32_e64 v12, s0, 0, v9, s0
	v_sub_co_u32 v13, s0, v7, s18
	v_sub_co_ci_u32_e32 v8, vcc_lo, v6, v8, vcc_lo
	v_subrev_co_ci_u32_e64 v10, s0, 0, v10, s0
	v_cmp_le_u32_e32 vcc_lo, s18, v13
	v_cmp_eq_u32_e64 s0, s19, v8
	v_cndmask_b32_e64 v13, 0, -1, vcc_lo
	v_cmp_le_u32_e32 vcc_lo, s19, v10
	v_cndmask_b32_e64 v14, 0, -1, vcc_lo
	v_cmp_le_u32_e32 vcc_lo, s18, v7
	;; [unrolled: 2-line block ×3, first 2 shown]
	v_cndmask_b32_e64 v15, 0, -1, vcc_lo
	v_cmp_eq_u32_e32 vcc_lo, s19, v10
	v_cndmask_b32_e64 v7, v15, v7, s0
	v_cndmask_b32_e32 v10, v14, v13, vcc_lo
	v_add_co_u32 v13, vcc_lo, v4, 1
	v_add_co_ci_u32_e32 v14, vcc_lo, 0, v9, vcc_lo
	v_cmp_ne_u32_e32 vcc_lo, 0, v10
	v_cndmask_b32_e32 v8, v14, v12, vcc_lo
	v_cndmask_b32_e32 v10, v13, v11, vcc_lo
	v_cmp_ne_u32_e32 vcc_lo, 0, v7
	v_cndmask_b32_e32 v8, v9, v8, vcc_lo
	v_cndmask_b32_e32 v7, v4, v10, vcc_lo
.LBB0_4:                                ;   in Loop: Header=BB0_2 Depth=1
	s_andn2_saveexec_b32 s0, s1
	s_cbranch_execz .LBB0_6
; %bb.5:                                ;   in Loop: Header=BB0_2 Depth=1
	v_cvt_f32_u32_e32 v4, s18
	s_sub_i32 s1, 0, s18
	v_rcp_iflag_f32_e32 v4, v4
	v_mul_f32_e32 v4, 0x4f7ffffe, v4
	v_cvt_u32_f32_e32 v4, v4
	v_mul_lo_u32 v7, s1, v4
	v_mul_hi_u32 v7, v4, v7
	v_add_nc_u32_e32 v4, v4, v7
	v_mul_hi_u32 v4, v5, v4
	v_mul_lo_u32 v7, v4, s18
	v_add_nc_u32_e32 v8, 1, v4
	v_sub_nc_u32_e32 v7, v5, v7
	v_subrev_nc_u32_e32 v9, s18, v7
	v_cmp_le_u32_e32 vcc_lo, s18, v7
	v_cndmask_b32_e32 v7, v7, v9, vcc_lo
	v_cndmask_b32_e32 v4, v4, v8, vcc_lo
	v_cmp_le_u32_e32 vcc_lo, s18, v7
	v_add_nc_u32_e32 v8, 1, v4
	v_cndmask_b32_e32 v7, v4, v8, vcc_lo
	v_mov_b32_e32 v8, v3
.LBB0_6:                                ;   in Loop: Header=BB0_2 Depth=1
	s_or_b32 exec_lo, exec_lo, s0
	s_load_dwordx2 s[0:1], s[6:7], 0x0
	v_mul_lo_u32 v4, v8, s18
	v_mul_lo_u32 v11, v7, s19
	v_mad_u64_u32 v[9:10], null, v7, s18, 0
	s_add_u32 s16, s16, 1
	s_addc_u32 s17, s17, 0
	s_add_u32 s6, s6, 8
	s_addc_u32 s7, s7, 0
	;; [unrolled: 2-line block ×3, first 2 shown]
	v_add3_u32 v4, v10, v11, v4
	v_sub_co_u32 v5, vcc_lo, v5, v9
	v_sub_co_ci_u32_e32 v4, vcc_lo, v6, v4, vcc_lo
	s_waitcnt lgkmcnt(0)
	v_mul_lo_u32 v6, s1, v5
	v_mul_lo_u32 v4, s0, v4
	v_mad_u64_u32 v[1:2], null, s0, v5, v[1:2]
	v_cmp_ge_u64_e64 s0, s[16:17], s[10:11]
	s_and_b32 vcc_lo, exec_lo, s0
	v_add3_u32 v2, v6, v2, v4
	s_cbranch_vccnz .LBB0_9
; %bb.7:                                ;   in Loop: Header=BB0_2 Depth=1
	v_mov_b32_e32 v5, v7
	v_mov_b32_e32 v6, v8
	s_branch .LBB0_2
.LBB0_8:
	v_mov_b32_e32 v8, v6
	v_mov_b32_e32 v7, v5
.LBB0_9:
	s_lshl_b64 s[0:1], s[10:11], 3
	v_mul_hi_u32 v5, 0x2082083, v0
	s_add_u32 s0, s12, s0
	s_addc_u32 s1, s13, s1
	s_load_dwordx2 s[0:1], s[0:1], 0x0
	s_load_dwordx2 s[4:5], s[4:5], 0x20
	s_waitcnt lgkmcnt(0)
	v_mul_lo_u32 v3, s0, v8
	v_mul_lo_u32 v4, s1, v7
	v_mad_u64_u32 v[1:2], null, s0, v7, v[1:2]
	v_cmp_gt_u64_e32 vcc_lo, s[4:5], v[7:8]
	v_add3_u32 v2, v4, v2, v3
	v_mul_u32_u24_e32 v3, 0x7e, v5
	v_lshlrev_b64 v[86:87], 4, v[1:2]
	v_sub_nc_u32_e32 v84, v0, v3
	s_and_saveexec_b32 s1, vcc_lo
	s_cbranch_execz .LBB0_13
; %bb.10:
	v_mov_b32_e32 v85, 0
	v_add_co_u32 v0, s0, s2, v86
	v_add_co_ci_u32_e64 v1, s0, s3, v87, s0
	v_lshlrev_b64 v[2:3], 4, v[84:85]
	v_lshl_add_u32 v62, v84, 4, 0
	s_mov_b32 s4, exec_lo
	v_add_co_u32 v10, s0, v0, v2
	v_add_co_ci_u32_e64 v11, s0, v1, v3, s0
	s_clause 0x1
	global_load_dwordx4 v[2:5], v[10:11], off
	global_load_dwordx4 v[6:9], v[10:11], off offset:2016
	v_add_co_u32 v12, s0, 0x800, v10
	v_add_co_ci_u32_e64 v13, s0, 0, v11, s0
	v_add_co_u32 v14, s0, 0x1000, v10
	v_add_co_ci_u32_e64 v15, s0, 0, v11, s0
	;; [unrolled: 2-line block ×13, first 2 shown]
	s_clause 0xc
	global_load_dwordx4 v[10:13], v[12:13], off offset:1984
	global_load_dwordx4 v[14:17], v[14:15], off offset:1952
	;; [unrolled: 1-line block ×13, first 2 shown]
	s_waitcnt vmcnt(14)
	ds_write_b128 v62, v[2:5]
	s_waitcnt vmcnt(13)
	ds_write_b128 v62, v[6:9] offset:2016
	s_waitcnt vmcnt(12)
	ds_write_b128 v62, v[10:13] offset:4032
	;; [unrolled: 2-line block ×14, first 2 shown]
	v_cmpx_eq_u32_e32 0x7d, v84
	s_cbranch_execz .LBB0_12
; %bb.11:
	v_add_co_u32 v0, s0, 0x7000, v0
	v_add_co_ci_u32_e64 v1, s0, 0, v1, s0
	v_mov_b32_e32 v84, 0x7d
	global_load_dwordx4 v[0:3], v[0:1], off offset:1568
	s_waitcnt vmcnt(0)
	ds_write_b128 v85, v[0:3] offset:30240
.LBB0_12:
	s_or_b32 exec_lo, exec_lo, s4
.LBB0_13:
	s_or_b32 exec_lo, exec_lo, s1
	v_lshlrev_b32_e32 v10, 4, v84
	s_waitcnt lgkmcnt(0)
	s_barrier
	buffer_gl0_inv
	s_add_u32 s1, s8, 0x7600
	v_add_nc_u32_e32 v88, 0, v10
	v_sub_nc_u32_e32 v11, 0, v10
	s_addc_u32 s4, s9, 0
	s_mov_b32 s5, exec_lo
                                        ; implicit-def: $vgpr4_vgpr5
	ds_read_b64 v[6:7], v88
	ds_read_b64 v[8:9], v11 offset:30240
	s_waitcnt lgkmcnt(0)
	v_add_f64 v[0:1], v[6:7], v[8:9]
	v_add_f64 v[2:3], v[6:7], -v[8:9]
	v_cmpx_ne_u32_e32 0, v84
	s_xor_b32 s5, exec_lo, s5
	s_cbranch_execz .LBB0_15
; %bb.14:
	v_mov_b32_e32 v85, 0
	v_add_f64 v[14:15], v[6:7], v[8:9]
	v_add_f64 v[16:17], v[6:7], -v[8:9]
	v_lshlrev_b64 v[0:1], 4, v[84:85]
	v_add_co_u32 v0, s0, s1, v0
	v_add_co_ci_u32_e64 v1, s0, s4, v1, s0
	global_load_dwordx4 v[2:5], v[0:1], off
	ds_read_b64 v[0:1], v11 offset:30248
	ds_read_b64 v[12:13], v88 offset:8
	s_waitcnt lgkmcnt(0)
	v_add_f64 v[6:7], v[0:1], v[12:13]
	v_add_f64 v[0:1], v[12:13], -v[0:1]
	s_waitcnt vmcnt(0)
	v_fma_f64 v[8:9], v[16:17], v[4:5], v[14:15]
	v_fma_f64 v[12:13], -v[16:17], v[4:5], v[14:15]
	v_fma_f64 v[14:15], v[6:7], v[4:5], -v[0:1]
	v_fma_f64 v[4:5], v[6:7], v[4:5], v[0:1]
	v_fma_f64 v[0:1], -v[6:7], v[2:3], v[8:9]
	v_fma_f64 v[6:7], v[6:7], v[2:3], v[12:13]
	v_fma_f64 v[8:9], v[16:17], v[2:3], v[14:15]
	;; [unrolled: 1-line block ×3, first 2 shown]
	v_mov_b32_e32 v4, v84
	v_mov_b32_e32 v5, v85
	ds_write_b128 v11, v[6:9] offset:30240
.LBB0_15:
	s_andn2_saveexec_b32 s0, s5
	s_cbranch_execz .LBB0_17
; %bb.16:
	v_mov_b32_e32 v8, 0
	ds_read_b128 v[4:7], v8 offset:15120
	s_waitcnt lgkmcnt(0)
	v_add_f64 v[12:13], v[4:5], v[4:5]
	v_mul_f64 v[14:15], v[6:7], -2.0
	v_mov_b32_e32 v4, 0
	v_mov_b32_e32 v5, 0
	ds_write_b128 v8, v[12:15] offset:15120
.LBB0_17:
	s_or_b32 exec_lo, exec_lo, s0
	v_lshlrev_b64 v[4:5], 4, v[4:5]
	ds_write_b128 v88, v[0:3]
	v_add_co_u32 v4, s0, s1, v4
	v_add_co_ci_u32_e64 v5, s0, s4, v5, s0
	v_add_co_u32 v12, s0, 0x800, v4
	global_load_dwordx4 v[6:9], v[4:5], off offset:2016
	v_add_co_ci_u32_e64 v13, s0, 0, v5, s0
	v_add_co_u32 v16, s0, 0x1000, v4
	v_add_co_ci_u32_e64 v17, s0, 0, v5, s0
	global_load_dwordx4 v[12:15], v[12:13], off offset:1984
	v_add_co_u32 v24, s0, 0x1800, v4
	global_load_dwordx4 v[16:19], v[16:17], off offset:1952
	v_add_co_ci_u32_e64 v25, s0, 0, v5, s0
	ds_read_b128 v[0:3], v88 offset:2016
	ds_read_b128 v[20:23], v11 offset:28224
	global_load_dwordx4 v[24:27], v[24:25], off offset:1920
	s_waitcnt lgkmcnt(0)
	v_add_f64 v[28:29], v[0:1], v[20:21]
	v_add_f64 v[30:31], v[22:23], v[2:3]
	v_add_f64 v[32:33], v[0:1], -v[20:21]
	v_add_f64 v[0:1], v[2:3], -v[22:23]
	s_waitcnt vmcnt(3)
	v_fma_f64 v[2:3], v[32:33], v[8:9], v[28:29]
	v_fma_f64 v[20:21], v[30:31], v[8:9], v[0:1]
	v_fma_f64 v[22:23], -v[32:33], v[8:9], v[28:29]
	v_fma_f64 v[8:9], v[30:31], v[8:9], -v[0:1]
	v_add_co_u32 v28, s0, 0x2000, v4
	v_add_co_ci_u32_e64 v29, s0, 0, v5, s0
	v_fma_f64 v[0:1], -v[30:31], v[6:7], v[2:3]
	v_fma_f64 v[2:3], v[32:33], v[6:7], v[20:21]
	v_fma_f64 v[20:21], v[30:31], v[6:7], v[22:23]
	;; [unrolled: 1-line block ×3, first 2 shown]
	ds_write_b128 v88, v[0:3] offset:2016
	ds_write_b128 v11, v[20:23] offset:28224
	ds_read_b128 v[0:3], v88 offset:4032
	ds_read_b128 v[6:9], v11 offset:26208
	global_load_dwordx4 v[20:23], v[28:29], off offset:1888
	s_waitcnt lgkmcnt(0)
	v_add_f64 v[28:29], v[0:1], v[6:7]
	v_add_f64 v[30:31], v[8:9], v[2:3]
	v_add_f64 v[32:33], v[0:1], -v[6:7]
	v_add_f64 v[0:1], v[2:3], -v[8:9]
	s_waitcnt vmcnt(3)
	v_fma_f64 v[2:3], v[32:33], v[14:15], v[28:29]
	v_fma_f64 v[6:7], v[30:31], v[14:15], v[0:1]
	v_fma_f64 v[8:9], -v[32:33], v[14:15], v[28:29]
	v_fma_f64 v[14:15], v[30:31], v[14:15], -v[0:1]
	v_fma_f64 v[0:1], -v[30:31], v[12:13], v[2:3]
	v_fma_f64 v[2:3], v[32:33], v[12:13], v[6:7]
	v_fma_f64 v[6:7], v[30:31], v[12:13], v[8:9]
	;; [unrolled: 1-line block ×3, first 2 shown]
	v_add_co_u32 v12, s0, 0x2800, v4
	v_add_co_ci_u32_e64 v13, s0, 0, v5, s0
	v_cmp_gt_u32_e64 s0, 63, v84
	ds_write_b128 v88, v[0:3] offset:4032
	ds_write_b128 v11, v[6:9] offset:26208
	ds_read_b128 v[0:3], v88 offset:6048
	ds_read_b128 v[6:9], v11 offset:24192
	global_load_dwordx4 v[12:15], v[12:13], off offset:1856
	s_waitcnt lgkmcnt(0)
	v_add_f64 v[28:29], v[0:1], v[6:7]
	v_add_f64 v[30:31], v[8:9], v[2:3]
	v_add_f64 v[32:33], v[0:1], -v[6:7]
	v_add_f64 v[0:1], v[2:3], -v[8:9]
	s_waitcnt vmcnt(3)
	v_fma_f64 v[2:3], v[32:33], v[18:19], v[28:29]
	v_fma_f64 v[6:7], v[30:31], v[18:19], v[0:1]
	v_fma_f64 v[8:9], -v[32:33], v[18:19], v[28:29]
	v_fma_f64 v[18:19], v[30:31], v[18:19], -v[0:1]
	v_fma_f64 v[0:1], -v[30:31], v[16:17], v[2:3]
	v_fma_f64 v[2:3], v[32:33], v[16:17], v[6:7]
	v_fma_f64 v[6:7], v[30:31], v[16:17], v[8:9]
	v_fma_f64 v[8:9], v[32:33], v[16:17], v[18:19]
	ds_write_b128 v88, v[0:3] offset:6048
	ds_write_b128 v11, v[6:9] offset:24192
	ds_read_b128 v[0:3], v88 offset:8064
	ds_read_b128 v[6:9], v11 offset:22176
	s_waitcnt lgkmcnt(0)
	v_add_f64 v[16:17], v[0:1], v[6:7]
	v_add_f64 v[18:19], v[8:9], v[2:3]
	v_add_f64 v[28:29], v[0:1], -v[6:7]
	v_add_f64 v[0:1], v[2:3], -v[8:9]
	s_waitcnt vmcnt(2)
	v_fma_f64 v[2:3], v[28:29], v[26:27], v[16:17]
	v_fma_f64 v[6:7], v[18:19], v[26:27], v[0:1]
	v_fma_f64 v[8:9], -v[28:29], v[26:27], v[16:17]
	v_fma_f64 v[16:17], v[18:19], v[26:27], -v[0:1]
	v_fma_f64 v[0:1], -v[18:19], v[24:25], v[2:3]
	v_fma_f64 v[2:3], v[28:29], v[24:25], v[6:7]
	v_fma_f64 v[6:7], v[18:19], v[24:25], v[8:9]
	v_fma_f64 v[8:9], v[28:29], v[24:25], v[16:17]
	ds_write_b128 v88, v[0:3] offset:8064
	ds_write_b128 v11, v[6:9] offset:22176
	ds_read_b128 v[0:3], v88 offset:10080
	ds_read_b128 v[6:9], v11 offset:20160
	s_waitcnt lgkmcnt(0)
	v_add_f64 v[16:17], v[0:1], v[6:7]
	v_add_f64 v[18:19], v[8:9], v[2:3]
	v_add_f64 v[24:25], v[0:1], -v[6:7]
	v_add_f64 v[0:1], v[2:3], -v[8:9]
	s_waitcnt vmcnt(1)
	v_fma_f64 v[2:3], v[24:25], v[22:23], v[16:17]
	v_fma_f64 v[6:7], v[18:19], v[22:23], v[0:1]
	v_fma_f64 v[8:9], -v[24:25], v[22:23], v[16:17]
	v_fma_f64 v[16:17], v[18:19], v[22:23], -v[0:1]
	v_fma_f64 v[0:1], -v[18:19], v[20:21], v[2:3]
	v_fma_f64 v[2:3], v[24:25], v[20:21], v[6:7]
	v_fma_f64 v[6:7], v[18:19], v[20:21], v[8:9]
	v_fma_f64 v[8:9], v[24:25], v[20:21], v[16:17]
	ds_write_b128 v88, v[0:3] offset:10080
	ds_write_b128 v11, v[6:9] offset:20160
	ds_read_b128 v[0:3], v88 offset:12096
	ds_read_b128 v[6:9], v11 offset:18144
	s_waitcnt lgkmcnt(0)
	v_add_f64 v[16:17], v[0:1], v[6:7]
	v_add_f64 v[18:19], v[8:9], v[2:3]
	v_add_f64 v[20:21], v[0:1], -v[6:7]
	v_add_f64 v[0:1], v[2:3], -v[8:9]
	s_waitcnt vmcnt(0)
	v_fma_f64 v[2:3], v[20:21], v[14:15], v[16:17]
	v_fma_f64 v[6:7], v[18:19], v[14:15], v[0:1]
	v_fma_f64 v[8:9], -v[20:21], v[14:15], v[16:17]
	v_fma_f64 v[14:15], v[18:19], v[14:15], -v[0:1]
	v_fma_f64 v[0:1], -v[18:19], v[12:13], v[2:3]
	v_fma_f64 v[2:3], v[20:21], v[12:13], v[6:7]
	v_fma_f64 v[6:7], v[18:19], v[12:13], v[8:9]
	;; [unrolled: 1-line block ×3, first 2 shown]
	ds_write_b128 v88, v[0:3] offset:12096
	ds_write_b128 v11, v[6:9] offset:18144
	s_and_saveexec_b32 s4, s0
	s_cbranch_execz .LBB0_19
; %bb.18:
	v_add_co_u32 v0, s1, 0x3000, v4
	v_add_co_ci_u32_e64 v1, s1, 0, v5, s1
	global_load_dwordx4 v[0:3], v[0:1], off offset:1824
	ds_read_b128 v[4:7], v88 offset:14112
	ds_read_b128 v[12:15], v11 offset:16128
	s_waitcnt lgkmcnt(0)
	v_add_f64 v[8:9], v[4:5], v[12:13]
	v_add_f64 v[16:17], v[14:15], v[6:7]
	v_add_f64 v[12:13], v[4:5], -v[12:13]
	v_add_f64 v[4:5], v[6:7], -v[14:15]
	s_waitcnt vmcnt(0)
	v_fma_f64 v[6:7], v[12:13], v[2:3], v[8:9]
	v_fma_f64 v[14:15], v[16:17], v[2:3], v[4:5]
	v_fma_f64 v[8:9], -v[12:13], v[2:3], v[8:9]
	v_fma_f64 v[18:19], v[16:17], v[2:3], -v[4:5]
	v_fma_f64 v[2:3], -v[16:17], v[0:1], v[6:7]
	v_fma_f64 v[4:5], v[12:13], v[0:1], v[14:15]
	v_fma_f64 v[6:7], v[16:17], v[0:1], v[8:9]
	;; [unrolled: 1-line block ×3, first 2 shown]
	ds_write_b128 v88, v[2:5] offset:14112
	ds_write_b128 v11, v[6:9] offset:16128
.LBB0_19:
	s_or_b32 exec_lo, exec_lo, s4
	s_waitcnt lgkmcnt(0)
	s_barrier
	buffer_gl0_inv
	s_barrier
	buffer_gl0_inv
	ds_read_b128 v[0:3], v88 offset:17136
	ds_read_b128 v[11:14], v88 offset:2016
	ds_read_b128 v[15:18], v88
	ds_read_b128 v[4:7], v88 offset:15120
	ds_read_b128 v[19:22], v88 offset:19152
	;; [unrolled: 1-line block ×11, first 2 shown]
	v_add_nc_u32_e32 v89, 0x7e, v84
	v_add_nc_u32_e32 v85, 0xfc, v84
	;; [unrolled: 1-line block ×5, first 2 shown]
	v_lshl_add_u32 v9, v89, 5, 0
	v_lshl_add_u32 v10, v85, 5, 0
	s_waitcnt lgkmcnt(12)
	v_add_f64 v[59:60], v[11:12], -v[0:1]
	v_add_f64 v[61:62], v[13:14], -v[2:3]
	s_waitcnt lgkmcnt(10)
	v_add_f64 v[63:64], v[15:16], -v[4:5]
	v_add_f64 v[65:66], v[17:18], -v[6:7]
	;; [unrolled: 3-line block ×4, first 2 shown]
	ds_read_b128 v[4:7], v88 offset:14112
	ds_read_b128 v[0:3], v88 offset:29232
	s_waitcnt lgkmcnt(6)
	v_add_f64 v[35:36], v[39:40], -v[35:36]
	v_add_f64 v[37:38], v[41:42], -v[37:38]
	s_waitcnt lgkmcnt(4)
	v_add_f64 v[47:48], v[43:44], -v[47:48]
	v_add_f64 v[49:50], v[45:46], -v[49:50]
	;; [unrolled: 3-line block ×3, first 2 shown]
	s_waitcnt lgkmcnt(0)
	s_barrier
	buffer_gl0_inv
	v_fma_f64 v[11:12], v[11:12], 2.0, -v[59:60]
	v_fma_f64 v[13:14], v[13:14], 2.0, -v[61:62]
	;; [unrolled: 1-line block ×8, first 2 shown]
	v_add_f64 v[0:1], v[4:5], -v[0:1]
	v_add_f64 v[2:3], v[6:7], -v[2:3]
	v_fma_f64 v[39:40], v[39:40], 2.0, -v[35:36]
	v_fma_f64 v[41:42], v[41:42], 2.0, -v[37:38]
	;; [unrolled: 1-line block ×6, first 2 shown]
	ds_write_b128 v9, v[59:62] offset:16
	ds_write_b128 v8, v[63:66] offset:16
	ds_write_b128 v9, v[11:14]
	ds_write_b128 v8, v[15:18]
	v_lshl_add_u32 v9, v73, 5, 0
	v_lshl_add_u32 v11, v72, 5, 0
	ds_write_b128 v10, v[19:22] offset:16
	ds_write_b128 v10, v[23:26]
	v_lshl_add_u32 v10, v84, 5, 0
	ds_write_b128 v9, v[27:30]
	ds_write_b128 v9, v[31:34] offset:16
	ds_write_b128 v11, v[39:42]
	ds_write_b128 v11, v[35:38] offset:16
	ds_write_b128 v10, v[43:46] offset:20160
	;; [unrolled: 1-line block ×5, first 2 shown]
	s_and_saveexec_b32 s1, s0
	s_cbranch_execz .LBB0_21
; %bb.20:
	v_fma_f64 v[6:7], v[6:7], 2.0, -v[2:3]
	v_fma_f64 v[4:5], v[4:5], 2.0, -v[0:1]
	ds_write_b128 v8, v[4:7] offset:28224
	ds_write_b128 v8, v[0:3] offset:28240
.LBB0_21:
	s_or_b32 exec_lo, exec_lo, s1
	v_and_b32_e32 v76, 1, v84
	s_waitcnt lgkmcnt(0)
	s_barrier
	buffer_gl0_inv
	v_lshrrev_b32_e32 v75, 1, v84
	v_lshlrev_b32_e32 v4, 5, v76
	v_lshrrev_b32_e32 v78, 1, v85
	v_and_b32_e32 v91, 0xff, v84
	v_lshrrev_b32_e32 v79, 1, v73
	v_lshrrev_b32_e32 v80, 1, v72
	s_clause 0x1
	global_load_dwordx4 v[12:15], v4, s[8:9]
	global_load_dwordx4 v[8:11], v4, s[8:9] offset:16
	ds_read_b128 v[28:31], v88 offset:12096
	ds_read_b128 v[24:27], v88 offset:14112
	;; [unrolled: 1-line block ×11, first 2 shown]
	ds_read_b128 v[40:43], v88
	ds_read_b128 v[44:47], v88 offset:2016
	ds_read_b128 v[64:67], v88 offset:4032
	;; [unrolled: 1-line block ×3, first 2 shown]
	v_mul_u32_u24_e32 v75, 6, v75
	v_mul_lo_u16 v81, 0xab, v91
	v_mul_u32_u24_e32 v78, 6, v78
	v_mul_u32_u24_e32 v79, 6, v79
	;; [unrolled: 1-line block ×3, first 2 shown]
	v_lshrrev_b32_e32 v77, 1, v89
	v_and_b32_e32 v90, 0xff, v89
	v_mov_b32_e32 v130, 0xaaab
	v_or_b32_e32 v122, v75, v76
	v_lshrrev_b16 v75, 10, v81
	v_or_b32_e32 v133, v78, v76
	v_or_b32_e32 v134, v79, v76
	;; [unrolled: 1-line block ×3, first 2 shown]
	v_mul_u32_u24_e32 v77, 6, v77
	v_mul_lo_u16 v110, 0xab, v90
	v_mul_u32_u24_sdwa v111, v85, v130 dst_sel:DWORD dst_unused:UNUSED_PAD src0_sel:WORD_0 src1_sel:DWORD
	v_lshl_add_u32 v136, v122, 4, 0
	s_mov_b32 s0, 0xe8584caa
	v_or_b32_e32 v132, v77, v76
	v_lshrrev_b16 v76, 10, v110
	v_lshrrev_b32_e32 v77, 18, v111
	s_mov_b32 s1, 0x3febb67a
	s_mov_b32 s5, 0xbfebb67a
	;; [unrolled: 1-line block ×3, first 2 shown]
	v_mul_lo_u16 v137, v75, 6
	v_mov_b32_e32 v74, 5
	v_mul_u32_u24_sdwa v131, v73, v130 dst_sel:DWORD dst_unused:UNUSED_PAD src0_sel:WORD_0 src1_sel:DWORD
	s_waitcnt vmcnt(0) lgkmcnt(0)
	s_barrier
	buffer_gl0_inv
	v_mul_f64 v[78:79], v[34:35], v[14:15]
	v_mul_f64 v[80:81], v[32:33], v[14:15]
	;; [unrolled: 1-line block ×20, first 2 shown]
	v_fma_f64 v[32:33], v[32:33], v[12:13], -v[78:79]
	v_fma_f64 v[34:35], v[34:35], v[12:13], v[80:81]
	v_fma_f64 v[36:37], v[36:37], v[8:9], -v[82:83]
	v_fma_f64 v[38:39], v[38:39], v[8:9], v[92:93]
	v_fma_f64 v[28:29], v[28:29], v[12:13], -v[94:95]
	v_fma_f64 v[30:31], v[30:31], v[12:13], v[96:97]
	v_fma_f64 v[48:49], v[48:49], v[8:9], -v[100:101]
	v_fma_f64 v[50:51], v[50:51], v[8:9], v[104:105]
	v_fma_f64 v[24:25], v[24:25], v[12:13], -v[98:99]
	v_fma_f64 v[26:27], v[26:27], v[12:13], v[102:103]
	v_fma_f64 v[56:57], v[56:57], v[8:9], -v[106:107]
	v_fma_f64 v[58:59], v[58:59], v[8:9], v[108:109]
	v_fma_f64 v[20:21], v[20:21], v[12:13], -v[110:111]
	v_fma_f64 v[22:23], v[22:23], v[12:13], v[112:113]
	v_fma_f64 v[52:53], v[52:53], v[8:9], -v[114:115]
	v_fma_f64 v[54:55], v[54:55], v[8:9], v[116:117]
	v_fma_f64 v[16:17], v[16:17], v[12:13], -v[118:119]
	v_fma_f64 v[12:13], v[18:19], v[12:13], v[14:15]
	v_fma_f64 v[60:61], v[60:61], v[8:9], -v[120:121]
	v_fma_f64 v[62:63], v[62:63], v[8:9], v[10:11]
	v_add_f64 v[8:9], v[40:41], v[32:33]
	v_add_f64 v[10:11], v[42:43], v[34:35]
	;; [unrolled: 1-line block ×5, first 2 shown]
	v_add_f64 v[34:35], v[34:35], -v[38:39]
	v_add_f64 v[80:81], v[28:29], v[48:49]
	v_add_f64 v[92:93], v[30:31], v[50:51]
	v_add_f64 v[32:33], v[32:33], -v[36:37]
	v_add_f64 v[82:83], v[46:47], v[30:31]
	v_add_f64 v[94:95], v[24:25], v[56:57]
	;; [unrolled: 1-line block ×3, first 2 shown]
	v_add_f64 v[98:99], v[30:31], -v[50:51]
	v_add_f64 v[100:101], v[28:29], -v[48:49]
	v_add_f64 v[102:103], v[20:21], v[52:53]
	v_add_f64 v[104:105], v[22:23], v[54:55]
	;; [unrolled: 1-line block ×6, first 2 shown]
	v_add_f64 v[118:119], v[26:27], -v[58:59]
	v_add_f64 v[116:117], v[6:7], v[12:13]
	v_add_f64 v[120:121], v[24:25], -v[56:57]
	v_add_f64 v[126:127], v[12:13], -v[62:63]
	v_fma_f64 v[26:27], v[14:15], -0.5, v[40:41]
	v_fma_f64 v[40:41], v[18:19], -0.5, v[42:43]
	v_add_f64 v[12:13], v[78:79], v[48:49]
	v_add_f64 v[106:107], v[68:69], v[20:21]
	v_fma_f64 v[42:43], v[80:81], -0.5, v[44:45]
	v_fma_f64 v[44:45], v[92:93], -0.5, v[46:47]
	v_add_f64 v[108:109], v[70:71], v[22:23]
	v_add_f64 v[122:123], v[22:23], -v[54:55]
	v_fma_f64 v[46:47], v[94:95], -0.5, v[64:65]
	v_fma_f64 v[48:49], v[96:97], -0.5, v[66:67]
	v_add_f64 v[124:125], v[20:21], -v[52:53]
	v_add_f64 v[114:115], v[4:5], v[16:17]
	v_fma_f64 v[64:65], v[102:103], -0.5, v[68:69]
	v_fma_f64 v[66:67], v[104:105], -0.5, v[70:71]
	v_add_f64 v[128:129], v[16:17], -v[60:61]
	v_add_f64 v[8:9], v[8:9], v[36:37]
	v_fma_f64 v[68:69], v[110:111], -0.5, v[4:5]
	v_fma_f64 v[70:71], v[112:113], -0.5, v[6:7]
	v_add_f64 v[10:11], v[10:11], v[38:39]
	v_add_f64 v[4:5], v[28:29], v[56:57]
	;; [unrolled: 1-line block ×4, first 2 shown]
	v_fma_f64 v[24:25], v[34:35], s[0:1], v[26:27]
	v_fma_f64 v[28:29], v[34:35], s[4:5], v[26:27]
	;; [unrolled: 1-line block ×12, first 2 shown]
	v_add_f64 v[18:19], v[108:109], v[54:55]
	v_add_f64 v[16:17], v[106:107], v[52:53]
	v_fma_f64 v[49:50], v[122:123], s[0:1], v[64:65]
	v_fma_f64 v[51:52], v[124:125], s[4:5], v[66:67]
	;; [unrolled: 1-line block ×4, first 2 shown]
	v_add_f64 v[20:21], v[114:115], v[60:61]
	v_add_f64 v[22:23], v[116:117], v[62:63]
	v_sub_nc_u16 v44, v84, v137
	v_fma_f64 v[57:58], v[126:127], s[0:1], v[68:69]
	v_fma_f64 v[59:60], v[128:129], s[4:5], v[70:71]
	;; [unrolled: 1-line block ×4, first 2 shown]
	v_lshlrev_b32_sdwa v70, v74, v44 dst_sel:DWORD dst_unused:UNUSED_PAD src0_sel:DWORD src1_sel:BYTE_0
	v_lshl_add_u32 v65, v132, 4, 0
	v_lshl_add_u32 v66, v133, 4, 0
	;; [unrolled: 1-line block ×4, first 2 shown]
	ds_write_b128 v136, v[8:11]
	ds_write_b128 v136, v[24:27] offset:32
	ds_write_b128 v136, v[28:31] offset:64
	ds_write_b128 v65, v[12:15]
	ds_write_b128 v65, v[32:35] offset:32
	ds_write_b128 v65, v[36:39] offset:64
	;; [unrolled: 3-line block ×5, first 2 shown]
	s_waitcnt lgkmcnt(0)
	s_barrier
	buffer_gl0_inv
	global_load_dwordx4 v[4:7], v70, s[8:9] offset:64
	v_mul_u32_u24_sdwa v8, v72, v130 dst_sel:DWORD dst_unused:UNUSED_PAD src0_sel:WORD_0 src1_sel:DWORD
	v_mul_lo_u16 v69, v76, 6
	v_mul_lo_u16 v9, v77, 6
	v_lshrrev_b32_e32 v49, 18, v131
	global_load_dwordx4 v[40:43], v70, s[8:9] offset:80
	v_lshrrev_b32_e32 v50, 18, v8
	v_sub_nc_u16 v45, v89, v69
	v_sub_nc_u16 v46, v85, v9
	v_mul_lo_u16 v9, v49, 6
	v_mov_b32_e32 v51, 0xe38f
	v_mul_lo_u16 v10, v50, 6
	v_lshlrev_b32_sdwa v8, v74, v45 dst_sel:DWORD dst_unused:UNUSED_PAD src0_sel:DWORD src1_sel:BYTE_0
	v_lshlrev_b32_sdwa v11, v74, v46 dst_sel:DWORD dst_unused:UNUSED_PAD src0_sel:DWORD src1_sel:WORD_0
	v_sub_nc_u16 v47, v73, v9
	v_mul_lo_u16 v52, v91, 57
	v_sub_nc_u16 v48, v72, v10
	s_clause 0x1
	global_load_dwordx4 v[32:35], v8, s[8:9] offset:64
	global_load_dwordx4 v[24:27], v8, s[8:9] offset:80
	v_lshlrev_b32_sdwa v8, v74, v47 dst_sel:DWORD dst_unused:UNUSED_PAD src0_sel:DWORD src1_sel:WORD_0
	s_clause 0x2
	global_load_dwordx4 v[20:23], v11, s[8:9] offset:64
	global_load_dwordx4 v[16:19], v11, s[8:9] offset:80
	;; [unrolled: 1-line block ×3, first 2 shown]
	v_lshlrev_b32_sdwa v28, v74, v48 dst_sel:DWORD dst_unused:UNUSED_PAD src0_sel:DWORD src1_sel:WORD_0
	s_clause 0x2
	global_load_dwordx4 v[8:11], v8, s[8:9] offset:80
	global_load_dwordx4 v[36:39], v28, s[8:9] offset:64
	;; [unrolled: 1-line block ×3, first 2 shown]
	v_mul_lo_u16 v53, v90, 57
	v_mov_b32_e32 v55, 0x120
	v_mul_u32_u24_sdwa v56, v85, v51 dst_sel:DWORD dst_unused:UNUSED_PAD src0_sel:WORD_0 src1_sel:DWORD
	v_mul_u32_u24_sdwa v57, v73, v51 dst_sel:DWORD dst_unused:UNUSED_PAD src0_sel:WORD_0 src1_sel:DWORD
	;; [unrolled: 1-line block ×3, first 2 shown]
	v_lshrrev_b16 v71, 10, v52
	v_lshrrev_b16 v83, 10, v53
	ds_read_b128 v[51:54], v88 offset:10080
	ds_read_b128 v[59:62], v88 offset:12096
	v_lshrrev_b32_e32 v129, 20, v56
	v_lshrrev_b32_e32 v130, 20, v57
	;; [unrolled: 1-line block ×3, first 2 shown]
	v_mul_u32_u24_sdwa v123, v75, v55 dst_sel:DWORD dst_unused:UNUSED_PAD src0_sel:WORD_0 src1_sel:DWORD
	v_mul_u32_u24_sdwa v132, v76, v55 dst_sel:DWORD dst_unused:UNUSED_PAD src0_sel:WORD_0 src1_sel:DWORD
	ds_read_b128 v[55:58], v88 offset:20160
	v_mul_lo_u16 v63, v71, 18
	v_mul_u32_u24_e32 v133, 0x120, v77
	v_mov_b32_e32 v92, 4
	v_mul_u32_u24_e32 v134, 0x120, v49
	v_mul_lo_u16 v49, v83, 18
	v_sub_nc_u16 v138, v84, v63
	ds_read_b128 v[63:66], v88 offset:22176
	ds_read_b128 v[67:70], v88 offset:8064
	;; [unrolled: 1-line block ×6, first 2 shown]
	v_sub_nc_u16 v139, v89, v49
	v_lshlrev_b32_sdwa v124, v92, v44 dst_sel:DWORD dst_unused:UNUSED_PAD src0_sel:DWORD src1_sel:BYTE_0
	v_lshlrev_b32_sdwa v140, v92, v45 dst_sel:DWORD dst_unused:UNUSED_PAD src0_sel:DWORD src1_sel:BYTE_0
	v_lshlrev_b32_sdwa v141, v92, v46 dst_sel:DWORD dst_unused:UNUSED_PAD src0_sel:DWORD src1_sel:WORD_0
	v_lshlrev_b32_sdwa v142, v92, v47 dst_sel:DWORD dst_unused:UNUSED_PAD src0_sel:DWORD src1_sel:WORD_0
	;; [unrolled: 1-line block ×3, first 2 shown]
	ds_read_b128 v[46:49], v88 offset:28224
	v_mul_u32_u24_e32 v135, 0x120, v50
	v_mul_lo_u16 v136, v129, 18
	v_lshlrev_b32_sdwa v144, v74, v138 dst_sel:DWORD dst_unused:UNUSED_PAD src0_sel:DWORD src1_sel:BYTE_0
	v_mul_lo_u16 v137, v130, 18
	v_lshlrev_b32_sdwa v145, v74, v139 dst_sel:DWORD dst_unused:UNUSED_PAD src0_sel:DWORD src1_sel:BYTE_0
	s_waitcnt vmcnt(9) lgkmcnt(9)
	v_mul_f64 v[101:102], v[53:54], v[6:7]
	v_mul_f64 v[6:7], v[51:52], v[6:7]
	s_waitcnt vmcnt(8) lgkmcnt(7)
	v_mul_f64 v[103:104], v[57:58], v[42:43]
	v_mul_f64 v[105:106], v[55:56], v[42:43]
	ds_read_b128 v[42:45], v88 offset:18144
	s_waitcnt vmcnt(7)
	v_mul_f64 v[107:108], v[61:62], v[34:35]
	v_mul_f64 v[34:35], v[59:60], v[34:35]
	s_waitcnt vmcnt(6) lgkmcnt(7)
	v_mul_f64 v[109:110], v[65:66], v[26:27]
	v_mul_f64 v[26:27], v[63:64], v[26:27]
	s_waitcnt vmcnt(5) lgkmcnt(5)
	;; [unrolled: 3-line block ×3, first 2 shown]
	v_mul_f64 v[115:116], v[81:82], v[18:19]
	v_mul_f64 v[18:19], v[79:80], v[18:19]
	v_fma_f64 v[50:51], v[51:52], v[4:5], -v[101:102]
	s_waitcnt vmcnt(3) lgkmcnt(3)
	v_mul_f64 v[101:102], v[95:96], v[14:15]
	v_mul_f64 v[14:15], v[93:94], v[14:15]
	s_waitcnt vmcnt(2) lgkmcnt(2)
	v_mul_f64 v[117:118], v[99:100], v[10:11]
	v_mul_f64 v[10:11], v[97:98], v[10:11]
	v_fma_f64 v[52:53], v[53:54], v[4:5], v[6:7]
	ds_read_b128 v[4:7], v88
	v_fma_f64 v[54:55], v[55:56], v[40:41], -v[103:104]
	v_fma_f64 v[56:57], v[57:58], v[40:41], v[105:106]
	s_waitcnt vmcnt(1) lgkmcnt(1)
	v_mul_f64 v[103:104], v[44:45], v[38:39]
	v_mul_f64 v[105:106], v[42:43], v[38:39]
	s_waitcnt vmcnt(0)
	v_mul_f64 v[119:120], v[48:49], v[30:31]
	v_mul_f64 v[121:122], v[46:47], v[30:31]
	v_fma_f64 v[58:59], v[59:60], v[32:33], -v[107:108]
	v_fma_f64 v[34:35], v[61:62], v[32:33], v[34:35]
	v_fma_f64 v[60:61], v[63:64], v[24:25], -v[109:110]
	v_fma_f64 v[26:27], v[65:66], v[24:25], v[26:27]
	v_fma_f64 v[62:63], v[75:76], v[20:21], -v[111:112]
	v_fma_f64 v[20:21], v[77:78], v[20:21], v[113:114]
	v_fma_f64 v[64:65], v[79:80], v[16:17], -v[115:116]
	v_fma_f64 v[16:17], v[81:82], v[16:17], v[18:19]
	ds_read_b128 v[22:25], v88 offset:2016
	ds_read_b128 v[30:33], v88 offset:4032
	;; [unrolled: 1-line block ×3, first 2 shown]
	v_fma_f64 v[18:19], v[93:94], v[12:13], -v[101:102]
	v_fma_f64 v[12:13], v[95:96], v[12:13], v[14:15]
	v_fma_f64 v[75:76], v[97:98], v[8:9], -v[117:118]
	v_fma_f64 v[77:78], v[99:100], v[8:9], v[10:11]
	v_add3_u32 v66, 0, v123, v124
	s_waitcnt lgkmcnt(0)
	v_add_f64 v[14:15], v[50:51], v[54:55]
	s_barrier
	v_fma_f64 v[8:9], v[42:43], v[36:37], -v[103:104]
	v_fma_f64 v[10:11], v[44:45], v[36:37], v[105:106]
	v_fma_f64 v[36:37], v[46:47], v[28:29], -v[119:120]
	v_fma_f64 v[28:29], v[48:49], v[28:29], v[121:122]
	v_add_f64 v[42:43], v[52:53], v[56:57]
	v_add_f64 v[44:45], v[4:5], v[50:51]
	;; [unrolled: 1-line block ×9, first 2 shown]
	v_add_f64 v[103:104], v[20:21], -v[16:17]
	v_add_f64 v[101:102], v[30:31], v[62:63]
	v_add_f64 v[93:94], v[24:25], v[34:35]
	;; [unrolled: 1-line block ×4, first 2 shown]
	v_add_f64 v[52:53], v[52:53], -v[56:57]
	v_add_f64 v[50:51], v[50:51], -v[54:55]
	v_fma_f64 v[123:124], v[14:15], -0.5, v[4:5]
	v_add_f64 v[34:35], v[34:35], -v[26:27]
	v_add_f64 v[58:59], v[58:59], -v[60:61]
	v_add_f64 v[119:120], v[69:70], v[10:11]
	v_add_f64 v[111:112], v[8:9], v[36:37]
	;; [unrolled: 1-line block ×3, first 2 shown]
	v_fma_f64 v[42:43], v[42:43], -0.5, v[6:7]
	v_add_f64 v[121:122], v[67:68], v[8:9]
	v_add_f64 v[62:63], v[62:63], -v[64:65]
	v_fma_f64 v[48:49], v[48:49], -0.5, v[22:23]
	v_fma_f64 v[79:80], v[79:80], -0.5, v[24:25]
	v_add_f64 v[6:7], v[46:47], v[56:57]
	v_add_f64 v[4:5], v[44:45], v[54:55]
	v_fma_f64 v[44:45], v[95:96], -0.5, v[30:31]
	v_fma_f64 v[46:47], v[97:98], -0.5, v[32:33]
	v_add_f64 v[107:108], v[40:41], v[12:13]
	v_add_f64 v[109:110], v[38:39], v[18:19]
	v_add_f64 v[113:114], v[12:13], -v[77:78]
	v_add_f64 v[117:118], v[18:19], -v[75:76]
	v_fma_f64 v[54:55], v[20:21], -0.5, v[38:39]
	v_fma_f64 v[56:57], v[105:106], -0.5, v[40:41]
	v_add_f64 v[125:126], v[10:11], -v[28:29]
	v_add_f64 v[127:128], v[8:9], -v[36:37]
	v_add_f64 v[8:9], v[81:82], v[60:61]
	v_add_f64 v[12:13], v[101:102], v[64:65]
	;; [unrolled: 1-line block ×3, first 2 shown]
	v_fma_f64 v[60:61], v[111:112], -0.5, v[67:68]
	v_fma_f64 v[64:65], v[115:116], -0.5, v[69:70]
	v_fma_f64 v[24:25], v[52:53], s[0:1], v[123:124]
	v_fma_f64 v[26:27], v[50:51], s[4:5], v[42:43]
	v_add_f64 v[22:23], v[119:120], v[28:29]
	v_fma_f64 v[28:29], v[52:53], s[4:5], v[123:124]
	v_fma_f64 v[30:31], v[50:51], s[0:1], v[42:43]
	v_add_f64 v[20:21], v[121:122], v[36:37]
	v_fma_f64 v[32:33], v[34:35], s[0:1], v[48:49]
	v_fma_f64 v[36:37], v[34:35], s[4:5], v[48:49]
	;; [unrolled: 1-line block ×4, first 2 shown]
	v_add_f64 v[14:15], v[99:100], v[16:17]
	v_fma_f64 v[40:41], v[103:104], s[0:1], v[44:45]
	v_fma_f64 v[42:43], v[62:63], s[4:5], v[46:47]
	;; [unrolled: 1-line block ×4, first 2 shown]
	v_add_f64 v[18:19], v[107:108], v[77:78]
	v_add_f64 v[16:17], v[109:110], v[75:76]
	v_fma_f64 v[48:49], v[113:114], s[0:1], v[54:55]
	v_fma_f64 v[50:51], v[117:118], s[4:5], v[56:57]
	v_fma_f64 v[52:53], v[113:114], s[4:5], v[54:55]
	v_fma_f64 v[54:55], v[117:118], s[0:1], v[56:57]
	v_fma_f64 v[56:57], v[125:126], s[0:1], v[60:61]
	v_fma_f64 v[58:59], v[127:128], s[4:5], v[64:65]
	v_fma_f64 v[60:61], v[125:126], s[4:5], v[60:61]
	v_fma_f64 v[62:63], v[127:128], s[0:1], v[64:65]
	v_add3_u32 v64, 0, v132, v140
	v_sub_nc_u16 v99, v85, v136
	v_add3_u32 v65, 0, v133, v141
	v_add3_u32 v67, 0, v134, v142
	;; [unrolled: 1-line block ×3, first 2 shown]
	buffer_gl0_inv
	ds_write_b128 v66, v[4:7]
	ds_write_b128 v66, v[24:27] offset:96
	ds_write_b128 v66, v[28:31] offset:192
	ds_write_b128 v64, v[8:11]
	ds_write_b128 v64, v[32:35] offset:96
	ds_write_b128 v64, v[36:39] offset:192
	;; [unrolled: 3-line block ×5, first 2 shown]
	v_mul_lo_u16 v20, v131, 18
	s_waitcnt lgkmcnt(0)
	s_barrier
	buffer_gl0_inv
	s_clause 0x1
	global_load_dwordx4 v[4:7], v144, s[8:9] offset:256
	global_load_dwordx4 v[8:11], v144, s[8:9] offset:272
	v_sub_nc_u16 v105, v73, v137
	v_lshlrev_b32_sdwa v24, v74, v99 dst_sel:DWORD dst_unused:UNUSED_PAD src0_sel:DWORD src1_sel:WORD_0
	s_clause 0x1
	global_load_dwordx4 v[12:15], v145, s[8:9] offset:256
	global_load_dwordx4 v[16:19], v145, s[8:9] offset:272
	v_sub_nc_u16 v106, v72, v20
	v_lshlrev_b32_sdwa v32, v74, v105 dst_sel:DWORD dst_unused:UNUSED_PAD src0_sel:DWORD src1_sel:WORD_0
	s_clause 0x1
	global_load_dwordx4 v[20:23], v24, s[8:9] offset:256
	global_load_dwordx4 v[24:27], v24, s[8:9] offset:272
	v_mov_b32_e32 v56, 0x360
	v_lshlrev_b32_sdwa v124, v92, v99 dst_sel:DWORD dst_unused:UNUSED_PAD src0_sel:DWORD src1_sel:WORD_0
	v_lshlrev_b32_sdwa v40, v74, v106 dst_sel:DWORD dst_unused:UNUSED_PAD src0_sel:DWORD src1_sel:WORD_0
	s_clause 0x3
	global_load_dwordx4 v[28:31], v32, s[8:9] offset:256
	global_load_dwordx4 v[32:35], v32, s[8:9] offset:272
	;; [unrolled: 1-line block ×4, first 2 shown]
	ds_read_b128 v[44:47], v88 offset:10080
	ds_read_b128 v[48:51], v88 offset:20160
	v_mul_u32_u24_sdwa v117, v71, v56 dst_sel:DWORD dst_unused:UNUSED_PAD src0_sel:WORD_0 src1_sel:DWORD
	ds_read_b128 v[52:55], v88 offset:12096
	ds_read_b128 v[60:63], v88 offset:14112
	v_mul_u32_u24_sdwa v118, v83, v56 dst_sel:DWORD dst_unused:UNUSED_PAD src0_sel:WORD_0 src1_sel:DWORD
	ds_read_b128 v[56:59], v88 offset:22176
	ds_read_b128 v[64:67], v88 offset:24192
	;; [unrolled: 1-line block ×7, first 2 shown]
	v_lshlrev_b32_sdwa v125, v92, v105 dst_sel:DWORD dst_unused:UNUSED_PAD src0_sel:DWORD src1_sel:WORD_0
	v_lshlrev_b32_sdwa v126, v92, v106 dst_sel:DWORD dst_unused:UNUSED_PAD src0_sel:DWORD src1_sel:WORD_0
	v_lshlrev_b32_sdwa v122, v92, v138 dst_sel:DWORD dst_unused:UNUSED_PAD src0_sel:DWORD src1_sel:BYTE_0
	v_lshlrev_b32_sdwa v123, v92, v139 dst_sel:DWORD dst_unused:UNUSED_PAD src0_sel:DWORD src1_sel:BYTE_0
	v_mul_u32_u24_e32 v120, 0x360, v130
	v_mul_u32_u24_e32 v121, 0x360, v131
	;; [unrolled: 1-line block ×3, first 2 shown]
	v_add3_u32 v117, 0, v117, v122
	s_waitcnt vmcnt(9) lgkmcnt(10)
	v_mul_f64 v[97:98], v[46:47], v[6:7]
	v_mul_f64 v[6:7], v[44:45], v[6:7]
	s_waitcnt vmcnt(8) lgkmcnt(9)
	v_mul_f64 v[99:100], v[50:51], v[10:11]
	v_mul_f64 v[10:11], v[48:49], v[10:11]
	;; [unrolled: 3-line block ×4, first 2 shown]
	s_waitcnt vmcnt(5)
	v_mul_f64 v[105:106], v[62:63], v[22:23]
	v_mul_f64 v[22:23], v[60:61], v[22:23]
	s_waitcnt vmcnt(4) lgkmcnt(5)
	v_mul_f64 v[107:108], v[66:67], v[26:27]
	v_mul_f64 v[26:27], v[64:65], v[26:27]
	s_waitcnt vmcnt(3) lgkmcnt(4)
	;; [unrolled: 3-line block ×5, first 2 shown]
	v_mul_f64 v[115:116], v[95:96], v[42:43]
	v_mul_f64 v[42:43], v[93:94], v[42:43]
	v_fma_f64 v[44:45], v[44:45], v[4:5], -v[97:98]
	v_fma_f64 v[46:47], v[46:47], v[4:5], v[6:7]
	v_fma_f64 v[48:49], v[48:49], v[8:9], -v[99:100]
	v_fma_f64 v[50:51], v[50:51], v[8:9], v[10:11]
	;; [unrolled: 2-line block ×6, first 2 shown]
	ds_read_b128 v[4:7], v88
	v_fma_f64 v[26:27], v[68:69], v[28:29], -v[109:110]
	v_fma_f64 v[28:29], v[70:71], v[28:29], v[30:31]
	v_fma_f64 v[30:31], v[76:77], v[32:33], -v[111:112]
	v_fma_f64 v[32:33], v[78:79], v[32:33], v[34:35]
	ds_read_b128 v[8:11], v88 offset:2016
	ds_read_b128 v[12:15], v88 offset:4032
	;; [unrolled: 1-line block ×3, first 2 shown]
	v_fma_f64 v[34:35], v[80:81], v[36:37], -v[113:114]
	v_fma_f64 v[36:37], v[82:83], v[36:37], v[38:39]
	v_fma_f64 v[38:39], v[93:94], v[40:41], -v[115:116]
	v_fma_f64 v[40:41], v[95:96], v[40:41], v[42:43]
	s_waitcnt lgkmcnt(0)
	s_barrier
	v_add_f64 v[42:43], v[44:45], v[48:49]
	v_add_f64 v[62:63], v[46:47], v[50:51]
	buffer_gl0_inv
	v_add_f64 v[68:69], v[52:53], v[56:57]
	v_add_f64 v[70:71], v[54:55], v[58:59]
	;; [unrolled: 1-line block ×7, first 2 shown]
	v_add_f64 v[97:98], v[20:21], -v[24:25]
	v_add_f64 v[20:21], v[26:27], v[30:31]
	v_add_f64 v[99:100], v[28:29], v[32:33]
	;; [unrolled: 1-line block ×5, first 2 shown]
	v_add_f64 v[107:108], v[28:29], -v[32:33]
	v_add_f64 v[28:29], v[36:37], v[40:41]
	v_add_f64 v[46:47], v[46:47], -v[50:51]
	v_add_f64 v[44:45], v[44:45], -v[48:49]
	v_add_f64 v[95:96], v[12:13], v[60:61]
	v_add_f64 v[103:104], v[16:17], v[26:27]
	v_fma_f64 v[4:5], v[42:43], -0.5, v[4:5]
	v_fma_f64 v[6:7], v[62:63], -0.5, v[6:7]
	v_add_f64 v[78:79], v[10:11], v[54:55]
	v_add_f64 v[54:55], v[54:55], -v[58:59]
	v_add_f64 v[52:53], v[52:53], -v[56:57]
	v_add_f64 v[109:110], v[26:27], -v[30:31]
	v_add_f64 v[26:27], v[74:75], v[36:37]
	v_add_f64 v[111:112], v[72:73], v[34:35]
	v_fma_f64 v[42:43], v[68:69], -0.5, v[8:9]
	v_fma_f64 v[62:63], v[70:71], -0.5, v[10:11]
	v_add_f64 v[60:61], v[60:61], -v[22:23]
	v_add_f64 v[8:9], v[64:65], v[48:49]
	v_fma_f64 v[48:49], v[80:81], -0.5, v[12:13]
	v_add_f64 v[12:13], v[76:77], v[56:57]
	v_fma_f64 v[56:57], v[82:83], -0.5, v[14:15]
	v_fma_f64 v[16:17], v[20:21], -0.5, v[16:17]
	;; [unrolled: 1-line block ×3, first 2 shown]
	v_add_f64 v[113:114], v[36:37], -v[40:41]
	v_add_f64 v[115:116], v[34:35], -v[38:39]
	v_add_f64 v[10:11], v[66:67], v[50:51]
	v_fma_f64 v[66:67], v[105:106], -0.5, v[72:73]
	v_fma_f64 v[68:69], v[28:29], -0.5, v[74:75]
	v_add_f64 v[20:21], v[93:94], v[24:25]
	v_add_f64 v[18:19], v[95:96], v[22:23]
	;; [unrolled: 1-line block ×4, first 2 shown]
	v_fma_f64 v[30:31], v[46:47], s[0:1], v[4:5]
	v_fma_f64 v[32:33], v[44:45], s[4:5], v[6:7]
	;; [unrolled: 1-line block ×4, first 2 shown]
	v_add_f64 v[14:15], v[78:79], v[58:59]
	v_add_f64 v[28:29], v[26:27], v[40:41]
	;; [unrolled: 1-line block ×3, first 2 shown]
	v_fma_f64 v[38:39], v[54:55], s[0:1], v[42:43]
	v_fma_f64 v[40:41], v[52:53], s[4:5], v[62:63]
	;; [unrolled: 1-line block ×16, first 2 shown]
	v_add3_u32 v16, 0, v118, v123
	v_add3_u32 v66, 0, v120, v125
	;; [unrolled: 1-line block ×4, first 2 shown]
	ds_write_b128 v117, v[8:11]
	ds_write_b128 v117, v[30:33] offset:288
	ds_write_b128 v117, v[34:37] offset:576
	ds_write_b128 v16, v[12:15]
	ds_write_b128 v16, v[38:41] offset:288
	ds_write_b128 v16, v[42:45] offset:576
	;; [unrolled: 3-line block ×5, first 2 shown]
	s_waitcnt lgkmcnt(0)
	s_barrier
	buffer_gl0_inv
	ds_read_b128 v[32:35], v88
	ds_read_b128 v[28:31], v88 offset:2016
	ds_read_b128 v[80:83], v88 offset:4320
	;; [unrolled: 1-line block ×13, first 2 shown]
	v_cmp_gt_u32_e64 s0, 18, v84
                                        ; implicit-def: $vgpr26_vgpr27
                                        ; implicit-def: $vgpr22_vgpr23
                                        ; implicit-def: $vgpr18_vgpr19
                                        ; implicit-def: $vgpr14_vgpr15
                                        ; implicit-def: $vgpr10_vgpr11
	s_and_saveexec_b32 s1, s0
	s_cbranch_execz .LBB0_23
; %bb.22:
	ds_read_b128 v[4:7], v88 offset:4032
	ds_read_b128 v[0:3], v88 offset:8352
	ds_read_b128 v[8:11], v88 offset:12672
	ds_read_b128 v[12:15], v88 offset:16992
	ds_read_b128 v[16:19], v88 offset:21312
	ds_read_b128 v[20:23], v88 offset:25632
	ds_read_b128 v[24:27], v88 offset:29952
.LBB0_23:
	s_or_b32 exec_lo, exec_lo, s1
	v_mul_lo_u16 v91, v91, 19
	v_mov_b32_e32 v103, 6
	v_mul_lo_u16 v90, v90, 19
	s_mov_b32 s4, 0x37e14327
	s_mov_b32 s6, 0x36b3c0b5
	v_lshrrev_b16 v93, 10, v91
	s_mov_b32 s14, 0xe976ee23
	v_lshrrev_b16 v94, 10, v90
	s_mov_b32 s10, 0x429ad128
	s_mov_b32 s5, 0x3fe948f6
	v_mul_lo_u16 v91, v93, 54
	s_mov_b32 s7, 0x3fac98ee
	v_mul_lo_u16 v90, v94, 54
	s_mov_b32 s15, 0xbfe11646
	s_mov_b32 s11, 0x3febfeb5
	v_sub_nc_u16 v91, v84, v91
	s_mov_b32 s12, 0xaaaaaaaa
	v_sub_nc_u16 v90, v89, v90
	s_mov_b32 s16, 0x5476071b
	s_mov_b32 s20, 0xb247c609
	v_mul_u32_u24_sdwa v95, v91, v103 dst_sel:DWORD dst_unused:UNUSED_PAD src0_sel:BYTE_0 src1_sel:DWORD
	s_mov_b32 s13, 0xbff2aaaa
	v_mul_u32_u24_sdwa v111, v90, v103 dst_sel:DWORD dst_unused:UNUSED_PAD src0_sel:BYTE_0 src1_sel:DWORD
	s_mov_b32 s17, 0x3fe77f67
	s_mov_b32 s19, 0xbfe77f67
	v_lshlrev_b32_e32 v115, 4, v95
	s_mov_b32 s21, 0x3fd5d0dc
	v_lshlrev_b32_e32 v139, 4, v111
	s_mov_b32 s23, 0xbfd5d0dc
	s_mov_b32 s18, s16
	s_clause 0xb
	global_load_dwordx4 v[95:98], v115, s[8:9] offset:832
	global_load_dwordx4 v[99:102], v115, s[8:9] offset:848
	;; [unrolled: 1-line block ×12, first 2 shown]
	s_mov_b32 s22, s20
	s_mov_b32 s24, 0x37c3f68c
	;; [unrolled: 1-line block ×3, first 2 shown]
	v_lshlrev_b32_sdwa v91, v92, v91 dst_sel:DWORD dst_unused:UNUSED_PAD src0_sel:DWORD src1_sel:BYTE_0
	v_lshlrev_b32_sdwa v90, v92, v90 dst_sel:DWORD dst_unused:UNUSED_PAD src0_sel:DWORD src1_sel:BYTE_0
	s_waitcnt vmcnt(0) lgkmcnt(0)
	s_barrier
	buffer_gl0_inv
	v_mul_f64 v[151:152], v[62:63], v[113:114]
	v_mul_f64 v[113:114], v[60:61], v[113:114]
	;; [unrolled: 1-line block ×14, first 2 shown]
	v_fma_f64 v[60:61], v[60:61], v[111:112], -v[151:152]
	v_fma_f64 v[62:63], v[62:63], v[111:112], v[113:114]
	v_fma_f64 v[72:73], v[72:73], v[115:116], -v[153:154]
	v_fma_f64 v[74:75], v[74:75], v[115:116], v[117:118]
	;; [unrolled: 2-line block ×3, first 2 shown]
	v_mul_f64 v[95:96], v[50:51], v[125:126]
	v_mul_f64 v[97:98], v[48:49], v[125:126]
	;; [unrolled: 1-line block ×4, first 2 shown]
	v_fma_f64 v[76:77], v[76:77], v[99:100], -v[145:146]
	v_fma_f64 v[78:79], v[78:79], v[99:100], v[101:102]
	v_mul_f64 v[99:100], v[54:55], v[133:134]
	v_mul_f64 v[101:102], v[52:53], v[133:134]
	;; [unrolled: 1-line block ×4, first 2 shown]
	v_fma_f64 v[68:69], v[68:69], v[103:104], -v[147:148]
	v_fma_f64 v[70:71], v[70:71], v[103:104], v[105:106]
	v_mul_f64 v[103:104], v[42:43], v[141:142]
	v_mul_f64 v[105:106], v[40:41], v[141:142]
	v_fma_f64 v[64:65], v[64:65], v[107:108], -v[149:150]
	v_fma_f64 v[66:67], v[66:67], v[107:108], v[109:110]
	v_fma_f64 v[44:45], v[44:45], v[119:120], -v[155:156]
	v_fma_f64 v[46:47], v[46:47], v[119:120], v[121:122]
	;; [unrolled: 2-line block ×4, first 2 shown]
	v_add_f64 v[95:96], v[80:81], v[72:73]
	v_add_f64 v[97:98], v[82:83], v[74:75]
	v_fma_f64 v[52:53], v[52:53], v[131:132], -v[99:100]
	v_fma_f64 v[54:55], v[54:55], v[131:132], v[101:102]
	v_fma_f64 v[36:37], v[36:37], v[135:136], -v[133:134]
	v_fma_f64 v[38:39], v[38:39], v[135:136], v[137:138]
	v_add_f64 v[99:100], v[76:77], v[60:61]
	v_add_f64 v[101:102], v[78:79], v[62:63]
	v_fma_f64 v[40:41], v[40:41], v[139:140], -v[103:104]
	v_fma_f64 v[42:43], v[42:43], v[139:140], v[105:106]
	v_add_f64 v[60:61], v[76:77], -v[60:61]
	v_add_f64 v[62:63], v[78:79], -v[62:63]
	v_add_f64 v[76:77], v[68:69], v[64:65]
	v_add_f64 v[78:79], v[70:71], v[66:67]
	v_add_f64 v[64:65], v[64:65], -v[68:69]
	v_add_f64 v[66:67], v[66:67], -v[70:71]
	;; [unrolled: 1-line block ×4, first 2 shown]
	v_mov_b32_e32 v127, 0x17a0
	v_add_f64 v[103:104], v[44:45], v[56:57]
	v_add_f64 v[105:106], v[46:47], v[58:59]
	v_add_f64 v[44:45], v[44:45], -v[56:57]
	v_add_f64 v[46:47], v[46:47], -v[58:59]
	v_add_f64 v[107:108], v[48:49], v[52:53]
	v_add_f64 v[109:110], v[50:51], v[54:55]
	v_add_f64 v[48:49], v[48:49], -v[52:53]
	v_add_f64 v[50:51], v[50:51], -v[54:55]
	;; [unrolled: 1-line block ×4, first 2 shown]
	v_add_f64 v[52:53], v[36:37], v[40:41]
	v_add_f64 v[54:55], v[38:39], v[42:43]
	v_add_f64 v[36:37], v[40:41], -v[36:37]
	v_add_f64 v[38:39], v[42:43], -v[38:39]
	v_add_f64 v[40:41], v[99:100], v[95:96]
	v_add_f64 v[42:43], v[101:102], v[97:98]
	v_add_f64 v[72:73], v[95:96], -v[76:77]
	v_add_f64 v[74:75], v[97:98], -v[78:79]
	v_add_f64 v[80:81], v[76:77], -v[99:100]
	v_add_f64 v[82:83], v[78:79], -v[101:102]
	v_add_f64 v[99:100], v[64:65], v[60:61]
	v_add_f64 v[101:102], v[66:67], v[62:63]
	v_add_f64 v[111:112], v[64:65], -v[60:61]
	v_add_f64 v[113:114], v[66:67], -v[62:63]
	;; [unrolled: 6-line block ×3, first 2 shown]
	v_add_f64 v[64:65], v[68:69], -v[64:65]
	v_add_f64 v[66:67], v[70:71], -v[66:67]
	;; [unrolled: 1-line block ×6, first 2 shown]
	v_add_f64 v[40:41], v[76:77], v[40:41]
	v_add_f64 v[42:43], v[78:79], v[42:43]
	;; [unrolled: 1-line block ×4, first 2 shown]
	v_add_f64 v[123:124], v[36:37], -v[48:49]
	v_add_f64 v[125:126], v[38:39], -v[50:51]
	;; [unrolled: 1-line block ×4, first 2 shown]
	v_mul_f64 v[72:73], v[72:73], s[4:5]
	v_mul_f64 v[76:77], v[80:81], s[6:7]
	v_add_f64 v[68:69], v[99:100], v[68:69]
	v_add_f64 v[70:71], v[101:102], v[70:71]
	;; [unrolled: 1-line block ×4, first 2 shown]
	v_mul_f64 v[74:75], v[74:75], s[4:5]
	v_mul_f64 v[78:79], v[82:83], s[6:7]
	;; [unrolled: 1-line block ×6, first 2 shown]
	v_add_f64 v[36:37], v[44:45], -v[36:37]
	v_add_f64 v[38:39], v[46:47], -v[38:39]
	v_add_f64 v[32:33], v[32:33], v[40:41]
	v_add_f64 v[34:35], v[34:35], v[42:43]
	;; [unrolled: 1-line block ×4, first 2 shown]
	v_mul_f64 v[103:104], v[103:104], s[4:5]
	v_mul_f64 v[105:106], v[105:106], s[4:5]
	v_mul_f64 v[119:120], v[123:124], s[14:15]
	v_mul_f64 v[121:122], v[125:126], s[14:15]
	v_mul_f64 v[123:124], v[48:49], s[10:11]
	v_mul_f64 v[125:126], v[50:51], s[10:11]
	v_mul_f64 v[111:112], v[107:108], s[6:7]
	v_mul_f64 v[113:114], v[109:110], s[6:7]
	v_add_f64 v[28:29], v[28:29], v[52:53]
	v_add_f64 v[30:31], v[30:31], v[54:55]
	v_fma_f64 v[80:81], v[80:81], s[6:7], v[72:73]
	v_fma_f64 v[76:77], v[56:57], s[16:17], -v[76:77]
	v_fma_f64 v[56:57], v[56:57], s[18:19], -v[72:73]
	v_fma_f64 v[72:73], v[82:83], s[6:7], v[74:75]
	v_fma_f64 v[78:79], v[58:59], s[16:17], -v[78:79]
	v_fma_f64 v[58:59], v[58:59], s[18:19], -v[74:75]
	v_fma_f64 v[74:75], v[64:65], s[20:21], v[95:96]
	v_fma_f64 v[82:83], v[66:67], s[20:21], v[97:98]
	v_fma_f64 v[60:61], v[60:61], s[10:11], -v[95:96]
	v_fma_f64 v[62:63], v[62:63], s[10:11], -v[97:98]
	;; [unrolled: 1-line block ×4, first 2 shown]
	v_fma_f64 v[40:41], v[40:41], s[12:13], v[32:33]
	v_fma_f64 v[42:43], v[42:43], s[12:13], v[34:35]
	;; [unrolled: 1-line block ×6, first 2 shown]
	v_fma_f64 v[36:37], v[36:37], s[22:23], -v[123:124]
	v_fma_f64 v[38:39], v[38:39], s[22:23], -v[125:126]
	v_fma_f64 v[52:53], v[52:53], s[12:13], v[28:29]
	v_fma_f64 v[54:55], v[54:55], s[12:13], v[30:31]
	v_fma_f64 v[103:104], v[115:116], s[18:19], -v[103:104]
	v_fma_f64 v[105:106], v[117:118], s[18:19], -v[105:106]
	;; [unrolled: 1-line block ×6, first 2 shown]
	v_fma_f64 v[74:75], v[68:69], s[24:25], v[74:75]
	v_fma_f64 v[82:83], v[70:71], s[24:25], v[82:83]
	;; [unrolled: 1-line block ×6, first 2 shown]
	v_add_f64 v[68:69], v[80:81], v[40:41]
	v_add_f64 v[70:71], v[72:73], v[42:43]
	;; [unrolled: 1-line block ×6, first 2 shown]
	v_fma_f64 v[101:102], v[44:45], s[24:25], v[101:102]
	v_fma_f64 v[80:81], v[46:47], s[24:25], v[107:108]
	v_add_f64 v[95:96], v[95:96], v[52:53]
	v_add_f64 v[97:98], v[97:98], v[54:55]
	v_fma_f64 v[111:112], v[44:45], s[24:25], v[36:37]
	v_fma_f64 v[113:114], v[46:47], s[24:25], v[38:39]
	v_add_f64 v[103:104], v[103:104], v[52:53]
	v_add_f64 v[105:106], v[105:106], v[54:55]
	;; [unrolled: 4-line block ×3, first 2 shown]
	v_mul_u32_u24_sdwa v93, v93, v127 dst_sel:DWORD dst_unused:UNUSED_PAD src0_sel:WORD_0 src1_sel:DWORD
	v_mul_u32_u24_sdwa v94, v94, v127 dst_sel:DWORD dst_unused:UNUSED_PAD src0_sel:WORD_0 src1_sel:DWORD
	v_add_f64 v[36:37], v[82:83], v[68:69]
	v_add_f64 v[38:39], v[70:71], -v[74:75]
	v_add_f64 v[40:41], v[66:67], v[56:57]
	v_add_f64 v[42:43], v[58:59], -v[64:65]
	v_add_f64 v[44:45], v[72:73], -v[62:63]
	v_add_f64 v[46:47], v[60:61], v[76:77]
	v_add_f64 v[48:49], v[62:63], v[72:73]
	v_add_f64 v[50:51], v[76:77], -v[60:61]
	v_add_f64 v[52:53], v[56:57], -v[66:67]
	v_add_f64 v[54:55], v[64:65], v[58:59]
	v_add_f64 v[56:57], v[68:69], -v[82:83]
	v_add_f64 v[58:59], v[74:75], v[70:71]
	v_add_f64 v[60:61], v[80:81], v[95:96]
	v_add_f64 v[62:63], v[97:98], -v[101:102]
	v_add_f64 v[64:65], v[113:114], v[103:104]
	v_add_f64 v[66:67], v[105:106], -v[111:112]
	v_add_f64 v[68:69], v[99:100], -v[107:108]
	v_add_f64 v[70:71], v[78:79], v[109:110]
	v_add_f64 v[72:73], v[107:108], v[99:100]
	v_add_f64 v[74:75], v[109:110], -v[78:79]
	v_add_f64 v[76:77], v[103:104], -v[113:114]
	v_add_f64 v[78:79], v[111:112], v[105:106]
	v_add_f64 v[80:81], v[95:96], -v[80:81]
	v_add_f64 v[82:83], v[101:102], v[97:98]
	v_add3_u32 v91, 0, v93, v91
	v_add3_u32 v90, 0, v94, v90
	ds_write_b128 v91, v[32:35]
	ds_write_b128 v91, v[36:39] offset:864
	ds_write_b128 v91, v[40:43] offset:1728
	;; [unrolled: 1-line block ×6, first 2 shown]
	ds_write_b128 v90, v[28:31]
	ds_write_b128 v90, v[60:63] offset:864
	ds_write_b128 v90, v[64:67] offset:1728
	;; [unrolled: 1-line block ×6, first 2 shown]
	s_and_saveexec_b32 s1, s0
	s_cbranch_execz .LBB0_25
; %bb.24:
	v_lshrrev_b16 v28, 1, v85
	v_mov_b32_e32 v29, 0x97b5
	v_mul_u32_u24_sdwa v28, v28, v29 dst_sel:DWORD dst_unused:UNUSED_PAD src0_sel:WORD_0 src1_sel:DWORD
	v_lshrrev_b32_e32 v28, 20, v28
	v_mul_lo_u16 v28, v28, 54
	v_sub_nc_u16 v28, v85, v28
	v_and_b32_e32 v64, 0xffff, v28
	v_mul_u32_u24_e32 v28, 6, v64
	v_lshlrev_b32_e32 v48, 4, v28
	s_clause 0x5
	global_load_dwordx4 v[28:31], v48, s[8:9] offset:848
	global_load_dwordx4 v[32:35], v48, s[8:9] offset:896
	;; [unrolled: 1-line block ×6, first 2 shown]
	s_waitcnt vmcnt(5)
	v_mul_f64 v[52:53], v[8:9], v[30:31]
	s_waitcnt vmcnt(4)
	v_mul_f64 v[54:55], v[20:21], v[34:35]
	;; [unrolled: 2-line block ×4, first 2 shown]
	v_mul_f64 v[30:31], v[10:11], v[30:31]
	v_mul_f64 v[34:35], v[22:23], v[34:35]
	;; [unrolled: 1-line block ×4, first 2 shown]
	s_waitcnt vmcnt(1)
	v_mul_f64 v[60:61], v[18:19], v[46:47]
	s_waitcnt vmcnt(0)
	v_mul_f64 v[62:63], v[14:15], v[50:51]
	v_mul_f64 v[50:51], v[12:13], v[50:51]
	;; [unrolled: 1-line block ×3, first 2 shown]
	v_fma_f64 v[10:11], v[10:11], v[28:29], v[52:53]
	v_fma_f64 v[22:23], v[22:23], v[32:33], v[54:55]
	;; [unrolled: 1-line block ×4, first 2 shown]
	v_fma_f64 v[8:9], v[8:9], v[28:29], -v[30:31]
	v_fma_f64 v[20:21], v[20:21], v[32:33], -v[34:35]
	;; [unrolled: 1-line block ×6, first 2 shown]
	v_fma_f64 v[14:15], v[14:15], v[48:49], v[50:51]
	v_fma_f64 v[18:19], v[18:19], v[44:45], v[46:47]
	v_add_f64 v[28:29], v[10:11], v[22:23]
	v_add_f64 v[10:11], v[10:11], -v[22:23]
	v_add_f64 v[30:31], v[2:3], v[26:27]
	v_add_f64 v[32:33], v[8:9], v[20:21]
	v_add_f64 v[8:9], v[8:9], -v[20:21]
	v_add_f64 v[34:35], v[0:1], v[24:25]
	v_add_f64 v[36:37], v[16:17], -v[12:13]
	v_add_f64 v[12:13], v[12:13], v[16:17]
	v_add_f64 v[20:21], v[14:15], v[18:19]
	v_add_f64 v[16:17], v[0:1], -v[24:25]
	v_add_f64 v[14:15], v[18:19], -v[14:15]
	;; [unrolled: 1-line block ×3, first 2 shown]
	v_add_f64 v[0:1], v[28:29], v[30:31]
	v_add_f64 v[2:3], v[32:33], v[34:35]
	v_add_f64 v[22:23], v[36:37], -v[8:9]
	v_add_f64 v[26:27], v[34:35], -v[12:13]
	;; [unrolled: 1-line block ×4, first 2 shown]
	v_add_f64 v[8:9], v[36:37], v[8:9]
	v_add_f64 v[42:43], v[10:11], -v[18:19]
	v_add_f64 v[36:37], v[16:17], -v[36:37]
	v_add_f64 v[40:41], v[20:21], v[0:1]
	v_add_f64 v[20:21], v[20:21], -v[28:29]
	v_add_f64 v[0:1], v[14:15], -v[10:11]
	v_add_f64 v[10:11], v[14:15], v[10:11]
	v_add_f64 v[44:45], v[12:13], v[2:3]
	v_add_f64 v[12:13], v[12:13], -v[32:33]
	v_mul_f64 v[22:23], v[22:23], s[14:15]
	v_mul_f64 v[26:27], v[26:27], s[4:5]
	;; [unrolled: 1-line block ×4, first 2 shown]
	v_add_f64 v[14:15], v[18:19], -v[14:15]
	v_mul_f64 v[48:49], v[42:43], s[10:11]
	v_add_f64 v[8:9], v[8:9], v[16:17]
	v_add_f64 v[2:3], v[6:7], v[40:41]
	v_add_f64 v[6:7], v[28:29], -v[30:31]
	v_mul_f64 v[28:29], v[20:21], s[6:7]
	v_mul_f64 v[30:31], v[0:1], s[14:15]
	v_add_f64 v[0:1], v[4:5], v[44:45]
	v_add_f64 v[4:5], v[32:33], -v[34:35]
	v_mul_f64 v[32:33], v[12:13], s[6:7]
	v_add_f64 v[10:11], v[10:11], v[18:19]
	v_fma_f64 v[16:17], v[36:37], s[20:21], v[22:23]
	v_fma_f64 v[18:19], v[20:21], s[6:7], v[24:25]
	;; [unrolled: 1-line block ×3, first 2 shown]
	v_fma_f64 v[20:21], v[36:37], s[22:23], -v[46:47]
	v_fma_f64 v[22:23], v[38:39], s[10:11], -v[22:23]
	v_fma_f64 v[34:35], v[40:41], s[12:13], v[2:3]
	v_fma_f64 v[24:25], v[6:7], s[18:19], -v[24:25]
	v_fma_f64 v[6:7], v[6:7], s[16:17], -v[28:29]
	v_fma_f64 v[28:29], v[14:15], s[20:21], v[30:31]
	v_fma_f64 v[36:37], v[44:45], s[12:13], v[0:1]
	v_fma_f64 v[14:15], v[14:15], s[22:23], -v[48:49]
	v_fma_f64 v[26:27], v[4:5], s[18:19], -v[26:27]
	;; [unrolled: 1-line block ×4, first 2 shown]
	v_fma_f64 v[16:17], v[8:9], s[24:25], v[16:17]
	v_fma_f64 v[20:21], v[8:9], s[24:25], v[20:21]
	;; [unrolled: 1-line block ×3, first 2 shown]
	v_add_f64 v[32:33], v[18:19], v[34:35]
	v_add_f64 v[22:23], v[24:25], v[34:35]
	;; [unrolled: 1-line block ×3, first 2 shown]
	v_fma_f64 v[28:29], v[10:11], s[24:25], v[28:29]
	v_add_f64 v[38:39], v[12:13], v[36:37]
	v_fma_f64 v[34:35], v[10:11], s[24:25], v[14:15]
	v_add_f64 v[40:41], v[26:27], v[36:37]
	;; [unrolled: 2-line block ×3, first 2 shown]
	v_add_f64 v[26:27], v[32:33], -v[16:17]
	v_add_f64 v[10:11], v[20:21], v[22:23]
	v_add_f64 v[22:23], v[22:23], -v[20:21]
	v_add_f64 v[6:7], v[16:17], v[32:33]
	v_add_f64 v[24:25], v[28:29], v[38:39]
	v_add_f64 v[14:15], v[18:19], -v[8:9]
	v_add_f64 v[20:21], v[34:35], v[40:41]
	;; [unrolled: 3-line block ×3, first 2 shown]
	v_add_f64 v[8:9], v[40:41], -v[34:35]
	v_add_f64 v[4:5], v[38:39], -v[28:29]
	v_lshl_add_u32 v28, v64, 4, 0
	ds_write_b128 v28, v[0:3] offset:24192
	ds_write_b128 v28, v[24:27] offset:25056
	;; [unrolled: 1-line block ×7, first 2 shown]
.LBB0_25:
	s_or_b32 exec_lo, exec_lo, s1
	v_lshlrev_b32_e32 v0, 2, v84
	v_mov_b32_e32 v1, 0
	s_waitcnt lgkmcnt(0)
	s_barrier
	buffer_gl0_inv
	s_mov_b32 s6, 0x134454ff
	v_lshlrev_b64 v[2:3], 4, v[0:1]
	v_lshlrev_b32_e32 v0, 2, v89
	s_mov_b32 s7, 0x3fee6f0e
	s_mov_b32 s11, 0xbfee6f0e
	;; [unrolled: 1-line block ×4, first 2 shown]
	v_add_co_u32 v2, s0, s8, v2
	v_add_co_ci_u32_e64 v3, s0, s9, v3, s0
	v_lshlrev_b64 v[10:11], 4, v[0:1]
	v_add_co_u32 v14, s0, 0x1780, v2
	v_lshlrev_b32_e32 v0, 2, v85
	v_add_co_ci_u32_e64 v15, s0, 0, v3, s0
	v_add_co_u32 v12, s0, 0x1000, v2
	v_add_co_ci_u32_e64 v13, s0, 0, v3, s0
	v_lshlrev_b64 v[22:23], 4, v[0:1]
	v_add_co_u32 v0, s0, s8, v10
	v_add_co_ci_u32_e64 v20, s0, s9, v11, s0
	s_clause 0x3
	global_load_dwordx4 v[2:5], v[14:15], off offset:16
	global_load_dwordx4 v[6:9], v[14:15], off offset:32
	;; [unrolled: 1-line block ×4, first 2 shown]
	v_add_co_u32 v18, s0, 0x1000, v0
	v_add_co_ci_u32_e64 v19, s0, 0, v20, s0
	v_add_co_u32 v30, s0, 0x1780, v0
	v_add_co_ci_u32_e64 v31, s0, 0, v20, s0
	v_add_co_u32 v0, s0, s8, v22
	v_add_co_ci_u32_e64 v32, s0, s9, v23, s0
	global_load_dwordx4 v[18:21], v[18:19], off offset:1920
	v_add_co_u32 v34, s0, 0x1000, v0
	v_add_co_ci_u32_e64 v35, s0, 0, v32, s0
	v_add_co_u32 v46, s0, 0x1780, v0
	s_clause 0x1
	global_load_dwordx4 v[22:25], v[30:31], off offset:32
	global_load_dwordx4 v[26:29], v[30:31], off offset:16
	v_add_co_ci_u32_e64 v47, s0, 0, v32, s0
	s_clause 0x4
	global_load_dwordx4 v[30:33], v[30:31], off offset:48
	global_load_dwordx4 v[34:37], v[34:35], off offset:1920
	;; [unrolled: 1-line block ×5, first 2 shown]
	ds_read_b128 v[50:53], v88 offset:6048
	ds_read_b128 v[54:57], v88 offset:4032
	;; [unrolled: 1-line block ×10, first 2 shown]
	ds_read_b128 v[97:100], v88
	ds_read_b128 v[101:104], v88 offset:2016
	ds_read_b128 v[105:108], v88 offset:20160
	;; [unrolled: 1-line block ×4, first 2 shown]
	s_mov_b32 s5, 0x3fe2cf23
	s_mov_b32 s9, 0xbfe2cf23
	;; [unrolled: 1-line block ×5, first 2 shown]
	s_waitcnt vmcnt(0) lgkmcnt(0)
	s_barrier
	buffer_gl0_inv
	v_mul_f64 v[117:118], v[60:61], v[4:5]
	v_mul_f64 v[82:83], v[52:53], v[12:13]
	;; [unrolled: 1-line block ×21, first 2 shown]
	v_fma_f64 v[50:51], v[50:51], v[10:11], -v[82:83]
	v_fma_f64 v[10:11], v[52:53], v[10:11], v[12:13]
	v_mul_f64 v[12:13], v[109:110], v[44:45]
	v_mul_f64 v[44:45], v[115:116], v[48:49]
	;; [unrolled: 1-line block ×3, first 2 shown]
	v_fma_f64 v[52:53], v[58:59], v[2:3], -v[117:118]
	v_fma_f64 v[2:3], v[60:61], v[2:3], v[4:5]
	v_fma_f64 v[4:5], v[66:67], v[6:7], -v[119:120]
	v_fma_f64 v[6:7], v[68:69], v[6:7], v[8:9]
	v_fma_f64 v[16:17], v[76:77], v[14:15], v[16:17]
	v_fma_f64 v[8:9], v[74:75], v[14:15], -v[121:122]
	v_fma_f64 v[14:15], v[89:90], v[18:19], -v[123:124]
	v_fma_f64 v[18:19], v[91:92], v[18:19], v[20:21]
	v_fma_f64 v[20:21], v[62:63], v[26:27], -v[125:126]
	v_fma_f64 v[26:27], v[64:65], v[26:27], v[28:29]
	v_fma_f64 v[28:29], v[105:106], v[22:23], -v[127:128]
	v_fma_f64 v[22:23], v[107:108], v[22:23], v[24:25]
	v_fma_f64 v[24:25], v[78:79], v[30:31], -v[129:130]
	v_fma_f64 v[30:31], v[80:81], v[30:31], v[32:33]
	v_fma_f64 v[32:33], v[93:94], v[34:35], -v[131:132]
	v_fma_f64 v[34:35], v[95:96], v[34:35], v[36:37]
	v_fma_f64 v[36:37], v[70:71], v[38:39], -v[133:134]
	v_fma_f64 v[38:39], v[72:73], v[38:39], v[40:41]
	v_fma_f64 v[40:41], v[109:110], v[42:43], -v[135:136]
	v_fma_f64 v[12:13], v[111:112], v[42:43], v[12:13]
	v_fma_f64 v[42:43], v[113:114], v[46:47], -v[44:45]
	v_fma_f64 v[44:45], v[115:116], v[46:47], v[48:49]
	v_add_f64 v[46:47], v[97:98], v[50:51]
	v_add_f64 v[72:73], v[99:100], v[10:11]
	;; [unrolled: 1-line block ×6, first 2 shown]
	v_add_f64 v[58:59], v[10:11], -v[16:17]
	v_add_f64 v[68:69], v[52:53], -v[50:51]
	;; [unrolled: 1-line block ×7, first 2 shown]
	v_add_f64 v[91:92], v[20:21], v[28:29]
	v_add_f64 v[95:96], v[26:27], v[22:23]
	;; [unrolled: 1-line block ×6, first 2 shown]
	v_add_f64 v[62:63], v[50:51], -v[52:53]
	v_add_f64 v[64:65], v[8:9], -v[4:5]
	v_add_f64 v[135:136], v[54:55], v[32:33]
	v_add_f64 v[137:138], v[36:37], v[40:41]
	;; [unrolled: 1-line block ×6, first 2 shown]
	v_add_f64 v[60:61], v[2:3], -v[6:7]
	v_add_f64 v[50:51], v[50:51], -v[8:9]
	;; [unrolled: 1-line block ×4, first 2 shown]
	v_fma_f64 v[48:49], v[48:49], -0.5, v[97:98]
	v_fma_f64 v[74:75], v[74:75], -0.5, v[99:100]
	v_add_f64 v[2:3], v[72:73], v[2:3]
	v_add_f64 v[46:47], v[46:47], v[52:53]
	v_add_f64 v[89:90], v[52:53], -v[4:5]
	v_add_f64 v[109:110], v[14:15], -v[20:21]
	;; [unrolled: 1-line block ×3, first 2 shown]
	v_fma_f64 v[66:67], v[66:67], -0.5, v[97:98]
	v_fma_f64 v[76:77], v[76:77], -0.5, v[99:100]
	v_add_f64 v[119:120], v[18:19], -v[26:27]
	v_add_f64 v[123:124], v[26:27], -v[18:19]
	v_add_f64 v[18:19], v[18:19], -v[30:31]
	v_add_f64 v[127:128], v[26:27], -v[22:23]
	v_add_f64 v[14:15], v[14:15], -v[24:25]
	v_add_f64 v[129:130], v[20:21], -v[28:29]
	v_add_f64 v[68:69], v[68:69], v[70:71]
	v_add_f64 v[70:71], v[78:79], v[80:81]
	;; [unrolled: 1-line block ×3, first 2 shown]
	v_fma_f64 v[10:11], v[91:92], -0.5, v[101:102]
	v_fma_f64 v[78:79], v[95:96], -0.5, v[103:104]
	v_add_f64 v[20:21], v[107:108], v[20:21]
	v_add_f64 v[26:27], v[117:118], v[26:27]
	v_add_f64 v[121:122], v[30:31], -v[22:23]
	v_fma_f64 v[72:73], v[93:94], -0.5, v[101:102]
	v_fma_f64 v[80:81], v[105:106], -0.5, v[103:104]
	v_add_f64 v[131:132], v[32:33], -v[36:37]
	v_add_f64 v[141:142], v[36:37], -v[32:33]
	;; [unrolled: 1-line block ×7, first 2 shown]
	v_add_f64 v[62:63], v[62:63], v[64:65]
	v_add_f64 v[64:65], v[36:37], -v[40:41]
	v_add_f64 v[36:37], v[135:136], v[36:37]
	v_fma_f64 v[105:106], v[137:138], -0.5, v[54:55]
	v_fma_f64 v[54:55], v[139:140], -0.5, v[54:55]
	v_add_f64 v[38:39], v[145:146], v[38:39]
	v_fma_f64 v[107:108], v[147:148], -0.5, v[56:57]
	v_add_f64 v[125:126], v[22:23], -v[30:31]
	v_fma_f64 v[56:57], v[153:154], -0.5, v[56:57]
	v_add_f64 v[91:92], v[113:114], v[115:116]
	v_add_f64 v[4:5], v[46:47], v[4:5]
	v_fma_f64 v[46:47], v[58:59], s[6:7], v[48:49]
	v_add_f64 v[6:7], v[2:3], v[6:7]
	v_fma_f64 v[113:114], v[50:51], s[10:11], v[74:75]
	;; [unrolled: 2-line block ×3, first 2 shown]
	v_fma_f64 v[111:112], v[60:61], s[10:11], v[66:67]
	v_fma_f64 v[66:67], v[60:61], s[6:7], v[66:67]
	;; [unrolled: 1-line block ×5, first 2 shown]
	v_add_f64 v[20:21], v[20:21], v[28:29]
	v_fma_f64 v[28:29], v[18:19], s[6:7], v[10:11]
	v_add_f64 v[22:23], v[26:27], v[22:23]
	v_fma_f64 v[26:27], v[14:15], s[10:11], v[78:79]
	;; [unrolled: 2-line block ×3, first 2 shown]
	v_fma_f64 v[119:120], v[129:130], s[6:7], v[80:81]
	v_fma_f64 v[72:73], v[127:128], s[6:7], v[72:73]
	;; [unrolled: 1-line block ×5, first 2 shown]
	v_add_f64 v[133:134], v[42:43], -v[40:41]
	v_add_f64 v[143:144], v[40:41], -v[42:43]
	;; [unrolled: 1-line block ×4, first 2 shown]
	v_add_f64 v[36:37], v[36:37], v[40:41]
	v_fma_f64 v[40:41], v[34:35], s[6:7], v[105:106]
	v_fma_f64 v[105:106], v[34:35], s[10:11], v[105:106]
	;; [unrolled: 1-line block ×3, first 2 shown]
	v_add_f64 v[12:13], v[38:39], v[12:13]
	v_fma_f64 v[38:39], v[32:33], s[10:11], v[107:108]
	v_add_f64 v[95:96], v[123:124], v[125:126]
	v_fma_f64 v[107:108], v[32:33], s[6:7], v[107:108]
	v_fma_f64 v[123:124], v[64:65], s[6:7], v[56:57]
	;; [unrolled: 1-line block ×5, first 2 shown]
	v_add_f64 v[2:3], v[4:5], v[8:9]
	v_add_f64 v[4:5], v[6:7], v[16:17]
	v_fma_f64 v[16:17], v[89:90], s[8:9], v[113:114]
	v_fma_f64 v[48:49], v[60:61], s[8:9], v[48:49]
	;; [unrolled: 1-line block ×15, first 2 shown]
	v_add_f64 v[101:102], v[131:132], v[133:134]
	v_add_f64 v[109:110], v[149:150], v[151:152]
	v_fma_f64 v[117:118], v[99:100], s[4:5], v[40:41]
	v_fma_f64 v[99:100], v[99:100], s[8:9], v[105:106]
	;; [unrolled: 1-line block ×4, first 2 shown]
	v_add_f64 v[103:104], v[141:142], v[143:144]
	v_add_f64 v[97:98], v[155:156], v[97:98]
	v_fma_f64 v[64:65], v[64:65], s[4:5], v[107:108]
	v_fma_f64 v[107:108], v[32:33], s[8:9], v[123:124]
	;; [unrolled: 1-line block ×4, first 2 shown]
	v_add_f64 v[6:7], v[20:21], v[24:25]
	v_add_f64 v[8:9], v[22:23], v[30:31]
	;; [unrolled: 1-line block ×4, first 2 shown]
	v_fma_f64 v[14:15], v[62:63], s[0:1], v[46:47]
	v_fma_f64 v[16:17], v[70:71], s[0:1], v[16:17]
	;; [unrolled: 1-line block ×24, first 2 shown]
	ds_write_b128 v88, v[2:5]
	ds_write_b128 v88, v[6:9] offset:2016
	ds_write_b128 v88, v[10:13] offset:4032
	;; [unrolled: 1-line block ×14, first 2 shown]
	s_waitcnt lgkmcnt(0)
	s_barrier
	buffer_gl0_inv
	s_and_saveexec_b32 s0, vcc_lo
	s_cbranch_execz .LBB0_27
; %bb.26:
	v_lshl_add_u32 v28, v84, 4, 0
	v_mov_b32_e32 v85, v1
	v_add_nc_u32_e32 v0, 0x7e, v84
	v_add_co_u32 v30, vcc_lo, s2, v86
	ds_read_b128 v[2:5], v28
	ds_read_b128 v[6:9], v28 offset:2016
	v_lshlrev_b64 v[10:11], 4, v[84:85]
	v_lshlrev_b64 v[12:13], 4, v[0:1]
	v_add_nc_u32_e32 v0, 0xfc, v84
	v_add_co_ci_u32_e32 v31, vcc_lo, s3, v87, vcc_lo
	v_add_co_u32 v10, vcc_lo, v30, v10
	v_lshlrev_b64 v[14:15], 4, v[0:1]
	v_add_co_ci_u32_e32 v11, vcc_lo, v31, v11, vcc_lo
	v_add_co_u32 v12, vcc_lo, v30, v12
	v_add_nc_u32_e32 v0, 0x17a, v84
	v_add_co_ci_u32_e32 v13, vcc_lo, v31, v13, vcc_lo
	v_add_co_u32 v20, vcc_lo, v30, v14
	v_lshlrev_b64 v[18:19], 4, v[0:1]
	s_waitcnt lgkmcnt(1)
	global_store_dwordx4 v[10:11], v[2:5], off
	s_waitcnt lgkmcnt(0)
	global_store_dwordx4 v[12:13], v[6:9], off
	v_add_nc_u32_e32 v0, 0x1f8, v84
	v_add_co_ci_u32_e32 v21, vcc_lo, v31, v15, vcc_lo
	ds_read_b128 v[2:5], v28 offset:4032
	ds_read_b128 v[6:9], v28 offset:6048
	;; [unrolled: 1-line block ×4, first 2 shown]
	v_lshlrev_b64 v[22:23], 4, v[0:1]
	v_add_nc_u32_e32 v0, 0x276, v84
	v_add_co_u32 v18, vcc_lo, v30, v18
	v_add_co_ci_u32_e32 v19, vcc_lo, v31, v19, vcc_lo
	v_lshlrev_b64 v[24:25], 4, v[0:1]
	v_add_nc_u32_e32 v0, 0x2f4, v84
	v_add_co_u32 v22, vcc_lo, v30, v22
	v_add_co_ci_u32_e32 v23, vcc_lo, v31, v23, vcc_lo
	v_add_co_u32 v24, vcc_lo, v30, v24
	v_lshlrev_b64 v[26:27], 4, v[0:1]
	v_add_nc_u32_e32 v0, 0x372, v84
	v_add_co_ci_u32_e32 v25, vcc_lo, v31, v25, vcc_lo
	s_waitcnt lgkmcnt(3)
	global_store_dwordx4 v[20:21], v[2:5], off
	s_waitcnt lgkmcnt(2)
	global_store_dwordx4 v[18:19], v[6:9], off
	;; [unrolled: 2-line block ×4, first 2 shown]
	v_lshlrev_b64 v[18:19], 4, v[0:1]
	v_add_nc_u32_e32 v0, 0x3f0, v84
	ds_read_b128 v[2:5], v28 offset:12096
	ds_read_b128 v[6:9], v28 offset:14112
	;; [unrolled: 1-line block ×4, first 2 shown]
	v_add_co_u32 v20, vcc_lo, v30, v26
	v_lshlrev_b64 v[22:23], 4, v[0:1]
	v_add_nc_u32_e32 v0, 0x46e, v84
	v_add_co_ci_u32_e32 v21, vcc_lo, v31, v27, vcc_lo
	v_add_co_u32 v18, vcc_lo, v30, v18
	v_lshlrev_b64 v[24:25], 4, v[0:1]
	v_add_nc_u32_e32 v0, 0x4ec, v84
	v_add_co_ci_u32_e32 v19, vcc_lo, v31, v19, vcc_lo
	v_add_co_u32 v22, vcc_lo, v30, v22
	v_add_co_ci_u32_e32 v23, vcc_lo, v31, v23, vcc_lo
	v_lshlrev_b64 v[26:27], 4, v[0:1]
	v_add_nc_u32_e32 v0, 0x56a, v84
	v_add_co_u32 v24, vcc_lo, v30, v24
	v_add_co_ci_u32_e32 v25, vcc_lo, v31, v25, vcc_lo
	s_waitcnt lgkmcnt(3)
	global_store_dwordx4 v[20:21], v[2:5], off
	s_waitcnt lgkmcnt(2)
	global_store_dwordx4 v[18:19], v[6:9], off
	;; [unrolled: 2-line block ×4, first 2 shown]
	v_lshlrev_b64 v[10:11], 4, v[0:1]
	v_add_co_u32 v22, vcc_lo, v30, v26
	v_add_nc_u32_e32 v0, 0x5e8, v84
	v_add_co_ci_u32_e32 v23, vcc_lo, v31, v27, vcc_lo
	v_add_co_u32 v26, vcc_lo, v30, v10
	ds_read_b128 v[2:5], v28 offset:20160
	ds_read_b128 v[6:9], v28 offset:22176
	v_add_co_ci_u32_e32 v27, vcc_lo, v31, v11, vcc_lo
	ds_read_b128 v[10:13], v28 offset:24192
	ds_read_b128 v[14:17], v28 offset:26208
	;; [unrolled: 1-line block ×3, first 2 shown]
	v_lshlrev_b64 v[24:25], 4, v[0:1]
	v_add_nc_u32_e32 v0, 0x666, v84
	v_lshlrev_b64 v[28:29], 4, v[0:1]
	v_add_nc_u32_e32 v0, 0x6e4, v84
	v_add_co_u32 v24, vcc_lo, v30, v24
	v_add_co_ci_u32_e32 v25, vcc_lo, v31, v25, vcc_lo
	v_lshlrev_b64 v[0:1], 4, v[0:1]
	v_add_co_u32 v28, vcc_lo, v30, v28
	v_add_co_ci_u32_e32 v29, vcc_lo, v31, v29, vcc_lo
	v_add_co_u32 v0, vcc_lo, v30, v0
	v_add_co_ci_u32_e32 v1, vcc_lo, v31, v1, vcc_lo
	s_waitcnt lgkmcnt(4)
	global_store_dwordx4 v[22:23], v[2:5], off
	s_waitcnt lgkmcnt(3)
	global_store_dwordx4 v[26:27], v[6:9], off
	;; [unrolled: 2-line block ×5, first 2 shown]
.LBB0_27:
	s_endpgm
	.section	.rodata,"a",@progbits
	.p2align	6, 0x0
	.amdhsa_kernel fft_rtc_fwd_len1890_factors_2_3_3_3_7_5_wgs_126_tpt_126_halfLds_dp_ip_CI_unitstride_sbrr_C2R_dirReg
		.amdhsa_group_segment_fixed_size 0
		.amdhsa_private_segment_fixed_size 0
		.amdhsa_kernarg_size 88
		.amdhsa_user_sgpr_count 6
		.amdhsa_user_sgpr_private_segment_buffer 1
		.amdhsa_user_sgpr_dispatch_ptr 0
		.amdhsa_user_sgpr_queue_ptr 0
		.amdhsa_user_sgpr_kernarg_segment_ptr 1
		.amdhsa_user_sgpr_dispatch_id 0
		.amdhsa_user_sgpr_flat_scratch_init 0
		.amdhsa_user_sgpr_private_segment_size 0
		.amdhsa_wavefront_size32 1
		.amdhsa_uses_dynamic_stack 0
		.amdhsa_system_sgpr_private_segment_wavefront_offset 0
		.amdhsa_system_sgpr_workgroup_id_x 1
		.amdhsa_system_sgpr_workgroup_id_y 0
		.amdhsa_system_sgpr_workgroup_id_z 0
		.amdhsa_system_sgpr_workgroup_info 0
		.amdhsa_system_vgpr_workitem_id 0
		.amdhsa_next_free_vgpr 157
		.amdhsa_next_free_sgpr 26
		.amdhsa_reserve_vcc 1
		.amdhsa_reserve_flat_scratch 0
		.amdhsa_float_round_mode_32 0
		.amdhsa_float_round_mode_16_64 0
		.amdhsa_float_denorm_mode_32 3
		.amdhsa_float_denorm_mode_16_64 3
		.amdhsa_dx10_clamp 1
		.amdhsa_ieee_mode 1
		.amdhsa_fp16_overflow 0
		.amdhsa_workgroup_processor_mode 1
		.amdhsa_memory_ordered 1
		.amdhsa_forward_progress 0
		.amdhsa_shared_vgpr_count 0
		.amdhsa_exception_fp_ieee_invalid_op 0
		.amdhsa_exception_fp_denorm_src 0
		.amdhsa_exception_fp_ieee_div_zero 0
		.amdhsa_exception_fp_ieee_overflow 0
		.amdhsa_exception_fp_ieee_underflow 0
		.amdhsa_exception_fp_ieee_inexact 0
		.amdhsa_exception_int_div_zero 0
	.end_amdhsa_kernel
	.text
.Lfunc_end0:
	.size	fft_rtc_fwd_len1890_factors_2_3_3_3_7_5_wgs_126_tpt_126_halfLds_dp_ip_CI_unitstride_sbrr_C2R_dirReg, .Lfunc_end0-fft_rtc_fwd_len1890_factors_2_3_3_3_7_5_wgs_126_tpt_126_halfLds_dp_ip_CI_unitstride_sbrr_C2R_dirReg
                                        ; -- End function
	.section	.AMDGPU.csdata,"",@progbits
; Kernel info:
; codeLenInByte = 15168
; NumSgprs: 28
; NumVgprs: 157
; ScratchSize: 0
; MemoryBound: 0
; FloatMode: 240
; IeeeMode: 1
; LDSByteSize: 0 bytes/workgroup (compile time only)
; SGPRBlocks: 3
; VGPRBlocks: 19
; NumSGPRsForWavesPerEU: 28
; NumVGPRsForWavesPerEU: 157
; Occupancy: 6
; WaveLimiterHint : 1
; COMPUTE_PGM_RSRC2:SCRATCH_EN: 0
; COMPUTE_PGM_RSRC2:USER_SGPR: 6
; COMPUTE_PGM_RSRC2:TRAP_HANDLER: 0
; COMPUTE_PGM_RSRC2:TGID_X_EN: 1
; COMPUTE_PGM_RSRC2:TGID_Y_EN: 0
; COMPUTE_PGM_RSRC2:TGID_Z_EN: 0
; COMPUTE_PGM_RSRC2:TIDIG_COMP_CNT: 0
	.text
	.p2alignl 6, 3214868480
	.fill 48, 4, 3214868480
	.type	__hip_cuid_75efea7fd914d6c1,@object ; @__hip_cuid_75efea7fd914d6c1
	.section	.bss,"aw",@nobits
	.globl	__hip_cuid_75efea7fd914d6c1
__hip_cuid_75efea7fd914d6c1:
	.byte	0                               ; 0x0
	.size	__hip_cuid_75efea7fd914d6c1, 1

	.ident	"AMD clang version 19.0.0git (https://github.com/RadeonOpenCompute/llvm-project roc-6.4.0 25133 c7fe45cf4b819c5991fe208aaa96edf142730f1d)"
	.section	".note.GNU-stack","",@progbits
	.addrsig
	.addrsig_sym __hip_cuid_75efea7fd914d6c1
	.amdgpu_metadata
---
amdhsa.kernels:
  - .args:
      - .actual_access:  read_only
        .address_space:  global
        .offset:         0
        .size:           8
        .value_kind:     global_buffer
      - .offset:         8
        .size:           8
        .value_kind:     by_value
      - .actual_access:  read_only
        .address_space:  global
        .offset:         16
        .size:           8
        .value_kind:     global_buffer
      - .actual_access:  read_only
        .address_space:  global
        .offset:         24
        .size:           8
        .value_kind:     global_buffer
      - .offset:         32
        .size:           8
        .value_kind:     by_value
      - .actual_access:  read_only
        .address_space:  global
        .offset:         40
        .size:           8
        .value_kind:     global_buffer
      - .actual_access:  read_only
        .address_space:  global
        .offset:         48
        .size:           8
        .value_kind:     global_buffer
      - .offset:         56
        .size:           4
        .value_kind:     by_value
      - .actual_access:  read_only
        .address_space:  global
        .offset:         64
        .size:           8
        .value_kind:     global_buffer
      - .actual_access:  read_only
        .address_space:  global
        .offset:         72
        .size:           8
        .value_kind:     global_buffer
      - .address_space:  global
        .offset:         80
        .size:           8
        .value_kind:     global_buffer
    .group_segment_fixed_size: 0
    .kernarg_segment_align: 8
    .kernarg_segment_size: 88
    .language:       OpenCL C
    .language_version:
      - 2
      - 0
    .max_flat_workgroup_size: 126
    .name:           fft_rtc_fwd_len1890_factors_2_3_3_3_7_5_wgs_126_tpt_126_halfLds_dp_ip_CI_unitstride_sbrr_C2R_dirReg
    .private_segment_fixed_size: 0
    .sgpr_count:     28
    .sgpr_spill_count: 0
    .symbol:         fft_rtc_fwd_len1890_factors_2_3_3_3_7_5_wgs_126_tpt_126_halfLds_dp_ip_CI_unitstride_sbrr_C2R_dirReg.kd
    .uniform_work_group_size: 1
    .uses_dynamic_stack: false
    .vgpr_count:     157
    .vgpr_spill_count: 0
    .wavefront_size: 32
    .workgroup_processor_mode: 1
amdhsa.target:   amdgcn-amd-amdhsa--gfx1030
amdhsa.version:
  - 1
  - 2
...

	.end_amdgpu_metadata
